;; amdgpu-corpus repo=ROCm/rocFFT kind=compiled arch=gfx1201 opt=O3
	.text
	.amdgcn_target "amdgcn-amd-amdhsa--gfx1201"
	.amdhsa_code_object_version 6
	.protected	fft_rtc_back_len4050_factors_10_5_3_3_3_3_wgs_135_tpt_135_halfLds_sp_ip_CI_unitstride_sbrr_dirReg ; -- Begin function fft_rtc_back_len4050_factors_10_5_3_3_3_3_wgs_135_tpt_135_halfLds_sp_ip_CI_unitstride_sbrr_dirReg
	.globl	fft_rtc_back_len4050_factors_10_5_3_3_3_3_wgs_135_tpt_135_halfLds_sp_ip_CI_unitstride_sbrr_dirReg
	.p2align	8
	.type	fft_rtc_back_len4050_factors_10_5_3_3_3_3_wgs_135_tpt_135_halfLds_sp_ip_CI_unitstride_sbrr_dirReg,@function
fft_rtc_back_len4050_factors_10_5_3_3_3_3_wgs_135_tpt_135_halfLds_sp_ip_CI_unitstride_sbrr_dirReg: ; @fft_rtc_back_len4050_factors_10_5_3_3_3_3_wgs_135_tpt_135_halfLds_sp_ip_CI_unitstride_sbrr_dirReg
; %bb.0:
	s_clause 0x2
	s_load_b128 s[4:7], s[0:1], 0x0
	s_load_b64 s[8:9], s[0:1], 0x50
	s_load_b64 s[10:11], s[0:1], 0x18
	v_mul_u32_u24_e32 v1, 0x1e6, v0
	v_mov_b32_e32 v3, 0
	s_delay_alu instid0(VALU_DEP_2) | instskip(NEXT) | instid1(VALU_DEP_1)
	v_lshrrev_b32_e32 v1, 16, v1
	v_add_nc_u32_e32 v5, ttmp9, v1
	v_mov_b32_e32 v1, 0
	v_mov_b32_e32 v2, 0
	;; [unrolled: 1-line block ×3, first 2 shown]
	s_wait_kmcnt 0x0
	v_cmp_lt_u64_e64 s2, s[6:7], 2
	s_delay_alu instid0(VALU_DEP_1)
	s_and_b32 vcc_lo, exec_lo, s2
	s_cbranch_vccnz .LBB0_8
; %bb.1:
	s_load_b64 s[2:3], s[0:1], 0x10
	v_mov_b32_e32 v1, 0
	v_mov_b32_e32 v2, 0
	s_add_nc_u64 s[12:13], s[10:11], 8
	s_mov_b64 s[14:15], 1
	s_wait_kmcnt 0x0
	s_add_nc_u64 s[16:17], s[2:3], 8
	s_mov_b32 s3, 0
.LBB0_2:                                ; =>This Inner Loop Header: Depth=1
	s_load_b64 s[18:19], s[16:17], 0x0
                                        ; implicit-def: $vgpr7_vgpr8
	s_mov_b32 s2, exec_lo
	s_wait_kmcnt 0x0
	v_or_b32_e32 v4, s19, v6
	s_delay_alu instid0(VALU_DEP_1)
	v_cmpx_ne_u64_e32 0, v[3:4]
	s_wait_alu 0xfffe
	s_xor_b32 s20, exec_lo, s2
	s_cbranch_execz .LBB0_4
; %bb.3:                                ;   in Loop: Header=BB0_2 Depth=1
	s_cvt_f32_u32 s2, s18
	s_cvt_f32_u32 s21, s19
	s_sub_nc_u64 s[24:25], 0, s[18:19]
	s_wait_alu 0xfffe
	s_delay_alu instid0(SALU_CYCLE_1) | instskip(SKIP_1) | instid1(SALU_CYCLE_2)
	s_fmamk_f32 s2, s21, 0x4f800000, s2
	s_wait_alu 0xfffe
	v_s_rcp_f32 s2, s2
	s_delay_alu instid0(TRANS32_DEP_1) | instskip(SKIP_1) | instid1(SALU_CYCLE_2)
	s_mul_f32 s2, s2, 0x5f7ffffc
	s_wait_alu 0xfffe
	s_mul_f32 s21, s2, 0x2f800000
	s_wait_alu 0xfffe
	s_delay_alu instid0(SALU_CYCLE_2) | instskip(SKIP_1) | instid1(SALU_CYCLE_2)
	s_trunc_f32 s21, s21
	s_wait_alu 0xfffe
	s_fmamk_f32 s2, s21, 0xcf800000, s2
	s_cvt_u32_f32 s23, s21
	s_wait_alu 0xfffe
	s_delay_alu instid0(SALU_CYCLE_1) | instskip(SKIP_1) | instid1(SALU_CYCLE_2)
	s_cvt_u32_f32 s22, s2
	s_wait_alu 0xfffe
	s_mul_u64 s[26:27], s[24:25], s[22:23]
	s_wait_alu 0xfffe
	s_mul_hi_u32 s29, s22, s27
	s_mul_i32 s28, s22, s27
	s_mul_hi_u32 s2, s22, s26
	s_mul_i32 s30, s23, s26
	s_wait_alu 0xfffe
	s_add_nc_u64 s[28:29], s[2:3], s[28:29]
	s_mul_hi_u32 s21, s23, s26
	s_mul_hi_u32 s31, s23, s27
	s_add_co_u32 s2, s28, s30
	s_wait_alu 0xfffe
	s_add_co_ci_u32 s2, s29, s21
	s_mul_i32 s26, s23, s27
	s_add_co_ci_u32 s27, s31, 0
	s_wait_alu 0xfffe
	s_add_nc_u64 s[26:27], s[2:3], s[26:27]
	s_wait_alu 0xfffe
	v_add_co_u32 v4, s2, s22, s26
	s_delay_alu instid0(VALU_DEP_1) | instskip(SKIP_1) | instid1(VALU_DEP_1)
	s_cmp_lg_u32 s2, 0
	s_add_co_ci_u32 s23, s23, s27
	v_readfirstlane_b32 s22, v4
	s_wait_alu 0xfffe
	s_delay_alu instid0(VALU_DEP_1)
	s_mul_u64 s[24:25], s[24:25], s[22:23]
	s_wait_alu 0xfffe
	s_mul_hi_u32 s27, s22, s25
	s_mul_i32 s26, s22, s25
	s_mul_hi_u32 s2, s22, s24
	s_mul_i32 s28, s23, s24
	s_wait_alu 0xfffe
	s_add_nc_u64 s[26:27], s[2:3], s[26:27]
	s_mul_hi_u32 s21, s23, s24
	s_mul_hi_u32 s22, s23, s25
	s_wait_alu 0xfffe
	s_add_co_u32 s2, s26, s28
	s_add_co_ci_u32 s2, s27, s21
	s_mul_i32 s24, s23, s25
	s_add_co_ci_u32 s25, s22, 0
	s_wait_alu 0xfffe
	s_add_nc_u64 s[24:25], s[2:3], s[24:25]
	s_wait_alu 0xfffe
	v_add_co_u32 v4, s2, v4, s24
	s_delay_alu instid0(VALU_DEP_1) | instskip(SKIP_1) | instid1(VALU_DEP_1)
	s_cmp_lg_u32 s2, 0
	s_add_co_ci_u32 s2, s23, s25
	v_mul_hi_u32 v13, v5, v4
	s_wait_alu 0xfffe
	v_mad_co_u64_u32 v[7:8], null, v5, s2, 0
	v_mad_co_u64_u32 v[9:10], null, v6, v4, 0
	;; [unrolled: 1-line block ×3, first 2 shown]
	s_delay_alu instid0(VALU_DEP_3) | instskip(SKIP_1) | instid1(VALU_DEP_4)
	v_add_co_u32 v4, vcc_lo, v13, v7
	s_wait_alu 0xfffd
	v_add_co_ci_u32_e32 v7, vcc_lo, 0, v8, vcc_lo
	s_delay_alu instid0(VALU_DEP_2) | instskip(SKIP_1) | instid1(VALU_DEP_2)
	v_add_co_u32 v4, vcc_lo, v4, v9
	s_wait_alu 0xfffd
	v_add_co_ci_u32_e32 v4, vcc_lo, v7, v10, vcc_lo
	s_wait_alu 0xfffd
	v_add_co_ci_u32_e32 v7, vcc_lo, 0, v12, vcc_lo
	s_delay_alu instid0(VALU_DEP_2) | instskip(SKIP_1) | instid1(VALU_DEP_2)
	v_add_co_u32 v4, vcc_lo, v4, v11
	s_wait_alu 0xfffd
	v_add_co_ci_u32_e32 v9, vcc_lo, 0, v7, vcc_lo
	s_delay_alu instid0(VALU_DEP_2) | instskip(SKIP_1) | instid1(VALU_DEP_3)
	v_mul_lo_u32 v10, s19, v4
	v_mad_co_u64_u32 v[7:8], null, s18, v4, 0
	v_mul_lo_u32 v11, s18, v9
	s_delay_alu instid0(VALU_DEP_2) | instskip(NEXT) | instid1(VALU_DEP_2)
	v_sub_co_u32 v7, vcc_lo, v5, v7
	v_add3_u32 v8, v8, v11, v10
	s_delay_alu instid0(VALU_DEP_1) | instskip(SKIP_1) | instid1(VALU_DEP_1)
	v_sub_nc_u32_e32 v10, v6, v8
	s_wait_alu 0xfffd
	v_subrev_co_ci_u32_e64 v10, s2, s19, v10, vcc_lo
	v_add_co_u32 v11, s2, v4, 2
	s_wait_alu 0xf1ff
	v_add_co_ci_u32_e64 v12, s2, 0, v9, s2
	v_sub_co_u32 v13, s2, v7, s18
	v_sub_co_ci_u32_e32 v8, vcc_lo, v6, v8, vcc_lo
	s_wait_alu 0xf1ff
	v_subrev_co_ci_u32_e64 v10, s2, 0, v10, s2
	s_delay_alu instid0(VALU_DEP_3) | instskip(NEXT) | instid1(VALU_DEP_3)
	v_cmp_le_u32_e32 vcc_lo, s18, v13
	v_cmp_eq_u32_e64 s2, s19, v8
	s_wait_alu 0xfffd
	v_cndmask_b32_e64 v13, 0, -1, vcc_lo
	v_cmp_le_u32_e32 vcc_lo, s19, v10
	s_wait_alu 0xfffd
	v_cndmask_b32_e64 v14, 0, -1, vcc_lo
	v_cmp_le_u32_e32 vcc_lo, s18, v7
	;; [unrolled: 3-line block ×3, first 2 shown]
	s_wait_alu 0xfffd
	v_cndmask_b32_e64 v15, 0, -1, vcc_lo
	v_cmp_eq_u32_e32 vcc_lo, s19, v10
	s_wait_alu 0xf1ff
	s_delay_alu instid0(VALU_DEP_2)
	v_cndmask_b32_e64 v7, v15, v7, s2
	s_wait_alu 0xfffd
	v_cndmask_b32_e32 v10, v14, v13, vcc_lo
	v_add_co_u32 v13, vcc_lo, v4, 1
	s_wait_alu 0xfffd
	v_add_co_ci_u32_e32 v14, vcc_lo, 0, v9, vcc_lo
	s_delay_alu instid0(VALU_DEP_3) | instskip(SKIP_2) | instid1(VALU_DEP_3)
	v_cmp_ne_u32_e32 vcc_lo, 0, v10
	s_wait_alu 0xfffd
	v_cndmask_b32_e32 v10, v13, v11, vcc_lo
	v_cndmask_b32_e32 v8, v14, v12, vcc_lo
	v_cmp_ne_u32_e32 vcc_lo, 0, v7
	s_wait_alu 0xfffd
	s_delay_alu instid0(VALU_DEP_2)
	v_dual_cndmask_b32 v7, v4, v10 :: v_dual_cndmask_b32 v8, v9, v8
.LBB0_4:                                ;   in Loop: Header=BB0_2 Depth=1
	s_wait_alu 0xfffe
	s_and_not1_saveexec_b32 s2, s20
	s_cbranch_execz .LBB0_6
; %bb.5:                                ;   in Loop: Header=BB0_2 Depth=1
	v_cvt_f32_u32_e32 v4, s18
	s_sub_co_i32 s20, 0, s18
	s_delay_alu instid0(VALU_DEP_1) | instskip(NEXT) | instid1(TRANS32_DEP_1)
	v_rcp_iflag_f32_e32 v4, v4
	v_mul_f32_e32 v4, 0x4f7ffffe, v4
	s_delay_alu instid0(VALU_DEP_1) | instskip(SKIP_1) | instid1(VALU_DEP_1)
	v_cvt_u32_f32_e32 v4, v4
	s_wait_alu 0xfffe
	v_mul_lo_u32 v7, s20, v4
	s_delay_alu instid0(VALU_DEP_1) | instskip(NEXT) | instid1(VALU_DEP_1)
	v_mul_hi_u32 v7, v4, v7
	v_add_nc_u32_e32 v4, v4, v7
	s_delay_alu instid0(VALU_DEP_1) | instskip(NEXT) | instid1(VALU_DEP_1)
	v_mul_hi_u32 v4, v5, v4
	v_mul_lo_u32 v7, v4, s18
	v_add_nc_u32_e32 v8, 1, v4
	s_delay_alu instid0(VALU_DEP_2) | instskip(NEXT) | instid1(VALU_DEP_1)
	v_sub_nc_u32_e32 v7, v5, v7
	v_subrev_nc_u32_e32 v9, s18, v7
	v_cmp_le_u32_e32 vcc_lo, s18, v7
	s_wait_alu 0xfffd
	s_delay_alu instid0(VALU_DEP_2) | instskip(NEXT) | instid1(VALU_DEP_1)
	v_dual_cndmask_b32 v7, v7, v9 :: v_dual_cndmask_b32 v4, v4, v8
	v_cmp_le_u32_e32 vcc_lo, s18, v7
	s_delay_alu instid0(VALU_DEP_2) | instskip(SKIP_1) | instid1(VALU_DEP_1)
	v_add_nc_u32_e32 v8, 1, v4
	s_wait_alu 0xfffd
	v_dual_cndmask_b32 v7, v4, v8 :: v_dual_mov_b32 v8, v3
.LBB0_6:                                ;   in Loop: Header=BB0_2 Depth=1
	s_wait_alu 0xfffe
	s_or_b32 exec_lo, exec_lo, s2
	s_load_b64 s[20:21], s[12:13], 0x0
	s_delay_alu instid0(VALU_DEP_1)
	v_mul_lo_u32 v4, v8, s18
	v_mul_lo_u32 v11, v7, s19
	v_mad_co_u64_u32 v[9:10], null, v7, s18, 0
	s_add_nc_u64 s[14:15], s[14:15], 1
	s_add_nc_u64 s[12:13], s[12:13], 8
	s_wait_alu 0xfffe
	v_cmp_ge_u64_e64 s2, s[14:15], s[6:7]
	s_add_nc_u64 s[16:17], s[16:17], 8
	s_delay_alu instid0(VALU_DEP_2) | instskip(NEXT) | instid1(VALU_DEP_3)
	v_add3_u32 v4, v10, v11, v4
	v_sub_co_u32 v5, vcc_lo, v5, v9
	s_wait_alu 0xfffd
	s_delay_alu instid0(VALU_DEP_2) | instskip(SKIP_3) | instid1(VALU_DEP_2)
	v_sub_co_ci_u32_e32 v4, vcc_lo, v6, v4, vcc_lo
	s_and_b32 vcc_lo, exec_lo, s2
	s_wait_kmcnt 0x0
	v_mul_lo_u32 v6, s21, v5
	v_mul_lo_u32 v4, s20, v4
	v_mad_co_u64_u32 v[1:2], null, s20, v5, v[1:2]
	s_delay_alu instid0(VALU_DEP_1)
	v_add3_u32 v2, v6, v2, v4
	s_wait_alu 0xfffe
	s_cbranch_vccnz .LBB0_9
; %bb.7:                                ;   in Loop: Header=BB0_2 Depth=1
	v_dual_mov_b32 v5, v7 :: v_dual_mov_b32 v6, v8
	s_branch .LBB0_2
.LBB0_8:
	v_dual_mov_b32 v8, v6 :: v_dual_mov_b32 v7, v5
.LBB0_9:
	s_lshl_b64 s[2:3], s[6:7], 3
	v_mul_hi_u32 v5, 0x1e573ad, v0
	s_wait_alu 0xfffe
	s_add_nc_u64 s[2:3], s[10:11], s[2:3]
                                        ; implicit-def: $vgpr9
                                        ; implicit-def: $vgpr23
                                        ; implicit-def: $vgpr11
                                        ; implicit-def: $vgpr21
                                        ; implicit-def: $vgpr13
                                        ; implicit-def: $vgpr19
                                        ; implicit-def: $vgpr15
                                        ; implicit-def: $vgpr17
                                        ; implicit-def: $vgpr41
                                        ; implicit-def: $vgpr63
                                        ; implicit-def: $vgpr43
                                        ; implicit-def: $vgpr61
                                        ; implicit-def: $vgpr39
                                        ; implicit-def: $vgpr59
                                        ; implicit-def: $vgpr45
                                        ; implicit-def: $vgpr57
                                        ; implicit-def: $vgpr37
                                        ; implicit-def: $vgpr31
                                        ; implicit-def: $vgpr27
                                        ; implicit-def: $vgpr53
                                        ; implicit-def: $vgpr47
                                        ; implicit-def: $vgpr65
                                        ; implicit-def: $vgpr29
                                        ; implicit-def: $vgpr51
                                        ; implicit-def: $vgpr49
                                        ; implicit-def: $vgpr55
                                        ; implicit-def: $vgpr25
                                        ; implicit-def: $vgpr34
	s_load_b64 s[2:3], s[2:3], 0x0
	s_load_b64 s[0:1], s[0:1], 0x20
	s_wait_kmcnt 0x0
	v_mul_lo_u32 v3, s2, v8
	v_mul_lo_u32 v4, s3, v7
	v_mad_co_u64_u32 v[1:2], null, s2, v7, v[1:2]
	v_cmp_gt_u64_e32 vcc_lo, s[0:1], v[7:8]
                                        ; implicit-def: $vgpr7
	s_delay_alu instid0(VALU_DEP_2) | instskip(SKIP_1) | instid1(VALU_DEP_2)
	v_add3_u32 v2, v4, v2, v3
	v_mul_u32_u24_e32 v4, 0x87, v5
                                        ; implicit-def: $vgpr5
	v_lshlrev_b64_e32 v[2:3], 3, v[1:2]
	s_delay_alu instid0(VALU_DEP_2)
	v_sub_nc_u32_e32 v0, v0, v4
	s_and_saveexec_b32 s1, vcc_lo
; %bb.10:
	v_mov_b32_e32 v1, 0
	s_delay_alu instid0(VALU_DEP_1) | instskip(NEXT) | instid1(VALU_DEP_4)
	v_lshlrev_b64_e32 v[4:5], 3, v[0:1]
	v_add_co_u32 v1, s0, s8, v2
	s_wait_alu 0xf1ff
	v_add_co_ci_u32_e64 v6, s0, s9, v3, s0
	s_delay_alu instid0(VALU_DEP_2) | instskip(SKIP_1) | instid1(VALU_DEP_2)
	v_add_co_u32 v8, s0, v1, v4
	s_wait_alu 0xf1ff
	v_add_co_ci_u32_e64 v9, s0, v6, v5, s0
	s_clause 0x1d
	global_load_b64 v[33:34], v[8:9], off
	global_load_b64 v[30:31], v[8:9], off offset:1080
	global_load_b64 v[36:37], v[8:9], off offset:4320
	;; [unrolled: 1-line block ×29, first 2 shown]
; %bb.11:
	s_wait_alu 0xfffe
	s_or_b32 exec_lo, exec_lo, s1
	s_wait_loadcnt 0x9
	v_dual_add_f32 v1, v64, v50 :: v_dual_add_f32 v32, v54, v33
	v_dual_sub_f32 v35, v55, v53 :: v_dual_sub_f32 v68, v52, v64
	v_add_f32_e32 v69, v52, v54
	s_delay_alu instid0(VALU_DEP_3) | instskip(NEXT) | instid1(VALU_DEP_4)
	v_fma_f32 v1, -0.5, v1, v33
	v_add_f32_e32 v32, v50, v32
	v_dual_sub_f32 v66, v51, v65 :: v_dual_sub_f32 v67, v54, v50
	s_delay_alu instid0(VALU_DEP_3) | instskip(NEXT) | instid1(VALU_DEP_3)
	v_dual_sub_f32 v70, v50, v54 :: v_dual_fmamk_f32 v71, v35, 0xbf737871, v1
	v_dual_fmac_f32 v33, -0.5, v69 :: v_dual_add_f32 v32, v64, v32
	s_delay_alu instid0(VALU_DEP_3) | instskip(SKIP_1) | instid1(VALU_DEP_3)
	v_dual_add_f32 v67, v68, v67 :: v_dual_add_f32 v72, v55, v34
	v_dual_fmac_f32 v1, 0x3f737871, v35 :: v_dual_sub_f32 v68, v64, v52
	v_dual_fmac_f32 v71, 0xbf167918, v66 :: v_dual_add_f32 v32, v52, v32
	s_delay_alu instid0(VALU_DEP_4) | instskip(NEXT) | instid1(VALU_DEP_3)
	v_fmamk_f32 v69, v66, 0x3f737871, v33
	v_fmac_f32_e32 v1, 0x3f167918, v66
	s_delay_alu instid0(VALU_DEP_3) | instskip(SKIP_1) | instid1(VALU_DEP_4)
	v_dual_add_f32 v68, v68, v70 :: v_dual_fmac_f32 v71, 0x3e9e377a, v67
	v_dual_sub_f32 v52, v54, v52 :: v_dual_add_f32 v73, v65, v51
	v_dual_fmac_f32 v69, 0xbf167918, v35 :: v_dual_sub_f32 v50, v50, v64
	v_dual_fmac_f32 v33, 0xbf737871, v66 :: v_dual_add_f32 v54, v53, v55
	v_add_f32_e32 v66, v51, v72
	s_delay_alu instid0(VALU_DEP_4)
	v_fma_f32 v70, -0.5, v73, v34
	v_fmac_f32_e32 v1, 0x3e9e377a, v67
	v_dual_fmac_f32 v69, 0x3e9e377a, v68 :: v_dual_sub_f32 v64, v55, v51
	v_fmac_f32_e32 v33, 0x3f167918, v35
	v_sub_f32_e32 v67, v53, v65
	v_add_f32_e32 v35, v65, v66
	v_fmac_f32_e32 v34, -0.5, v54
	v_fmamk_f32 v66, v52, 0x3f737871, v70
	v_fmac_f32_e32 v70, 0xbf737871, v52
	s_delay_alu instid0(VALU_DEP_4) | instskip(NEXT) | instid1(VALU_DEP_4)
	v_dual_add_f32 v54, v67, v64 :: v_dual_add_f32 v35, v53, v35
	v_dual_fmamk_f32 v64, v50, 0xbf737871, v34 :: v_dual_sub_f32 v51, v51, v55
	s_delay_alu instid0(VALU_DEP_3) | instskip(SKIP_2) | instid1(VALU_DEP_3)
	v_dual_fmac_f32 v70, 0xbf167918, v50 :: v_dual_sub_f32 v53, v65, v53
	v_dual_add_f32 v55, v48, v24 :: v_dual_fmac_f32 v34, 0x3f737871, v50
	v_fmac_f32_e32 v66, 0x3f167918, v50
	v_dual_fmac_f32 v64, 0x3f167918, v52 :: v_dual_add_f32 v51, v53, v51
	s_delay_alu instid0(VALU_DEP_4) | instskip(SKIP_4) | instid1(VALU_DEP_3)
	v_fmac_f32_e32 v70, 0x3e9e377a, v54
	s_wait_loadcnt 0x5
	v_dual_add_f32 v50, v28, v55 :: v_dual_add_f32 v53, v46, v28
	v_dual_fmac_f32 v33, 0x3e9e377a, v68 :: v_dual_fmac_f32 v66, 0x3e9e377a, v54
	v_fmac_f32_e32 v64, 0x3e9e377a, v51
	v_dual_add_f32 v50, v46, v50 :: v_dual_sub_f32 v55, v48, v28
	v_fmac_f32_e32 v34, 0xbf167918, v52
	v_fma_f32 v52, -0.5, v53, v24
	s_wait_loadcnt 0x3
	v_dual_add_f32 v53, v26, v48 :: v_dual_sub_f32 v54, v49, v27
	v_dual_sub_f32 v65, v26, v46 :: v_dual_sub_f32 v68, v28, v48
	v_sub_f32_e32 v72, v46, v26
	v_dual_fmac_f32 v34, 0x3e9e377a, v51 :: v_dual_add_f32 v51, v26, v50
	v_sub_f32_e32 v50, v29, v47
	v_fmac_f32_e32 v24, -0.5, v53
	v_fmamk_f32 v53, v54, 0xbf737871, v52
	v_dual_fmac_f32 v52, 0x3f737871, v54 :: v_dual_add_f32 v55, v65, v55
	v_sub_f32_e32 v28, v28, v46
	v_sub_f32_e32 v26, v48, v26
	s_delay_alu instid0(VALU_DEP_4) | instskip(SKIP_3) | instid1(VALU_DEP_4)
	v_fmac_f32_e32 v53, 0xbf167918, v50
	v_fmamk_f32 v67, v50, 0x3f737871, v24
	v_fmac_f32_e32 v24, 0xbf737871, v50
	v_fmac_f32_e32 v52, 0x3f167918, v50
	v_dual_add_f32 v50, v47, v29 :: v_dual_fmac_f32 v53, 0x3e9e377a, v55
	s_delay_alu instid0(VALU_DEP_4) | instskip(NEXT) | instid1(VALU_DEP_4)
	v_fmac_f32_e32 v67, 0xbf167918, v54
	v_fmac_f32_e32 v24, 0x3f167918, v54
	v_dual_add_f32 v54, v27, v49 :: v_dual_add_f32 v65, v72, v68
	s_delay_alu instid0(VALU_DEP_4) | instskip(SKIP_1) | instid1(VALU_DEP_3)
	v_fma_f32 v50, -0.5, v50, v25
	v_add_f32_e32 v48, v49, v25
	v_dual_fmac_f32 v52, 0x3e9e377a, v55 :: v_dual_fmac_f32 v25, -0.5, v54
	s_delay_alu instid0(VALU_DEP_4)
	v_fmac_f32_e32 v67, 0x3e9e377a, v65
	v_dual_sub_f32 v46, v49, v29 :: v_dual_sub_f32 v55, v27, v47
	v_sub_f32_e32 v49, v29, v49
	v_fmac_f32_e32 v24, 0x3e9e377a, v65
	v_fmamk_f32 v65, v28, 0xbf737871, v25
	v_dual_fmac_f32 v25, 0x3f737871, v28 :: v_dual_sub_f32 v68, v47, v27
	v_mul_f32_e32 v74, 0x3f167918, v53
	v_cmp_gt_u32_e64 s0, 15, v0
	s_delay_alu instid0(VALU_DEP_4) | instskip(NEXT) | instid1(VALU_DEP_4)
	v_fmac_f32_e32 v65, 0x3f167918, v26
	v_dual_add_f32 v46, v55, v46 :: v_dual_add_f32 v49, v68, v49
	s_delay_alu instid0(VALU_DEP_1) | instskip(SKIP_2) | instid1(VALU_DEP_3)
	v_fmac_f32_e32 v65, 0x3e9e377a, v49
	v_fmac_f32_e32 v25, 0xbf167918, v26
	v_fmamk_f32 v54, v26, 0x3f737871, v50
	v_dual_fmac_f32 v50, 0xbf737871, v26 :: v_dual_mul_f32 v55, 0xbf737871, v65
	s_delay_alu instid0(VALU_DEP_3) | instskip(NEXT) | instid1(VALU_DEP_3)
	v_fmac_f32_e32 v25, 0x3e9e377a, v49
	v_fmac_f32_e32 v54, 0x3f167918, v28
	s_delay_alu instid0(VALU_DEP_3) | instskip(NEXT) | instid1(VALU_DEP_3)
	v_fmac_f32_e32 v55, 0x3e9e377a, v67
	v_mul_f32_e32 v68, 0xbf737871, v25
	v_mul_f32_e32 v75, 0xbe9e377a, v25
	;; [unrolled: 1-line block ×3, first 2 shown]
	s_delay_alu instid0(VALU_DEP_3) | instskip(SKIP_1) | instid1(VALU_DEP_4)
	v_fmac_f32_e32 v68, 0xbe9e377a, v24
	v_fmac_f32_e32 v54, 0x3e9e377a, v46
	;; [unrolled: 1-line block ×5, first 2 shown]
	v_add_f32_e32 v49, v33, v68
	v_dual_add_f32 v26, v29, v48 :: v_dual_mul_f32 v29, 0xbf167918, v54
	v_add_f32_e32 v48, v69, v55
	v_sub_f32_e32 v55, v69, v55
	s_delay_alu instid0(VALU_DEP_3) | instskip(NEXT) | instid1(VALU_DEP_1)
	v_dual_add_f32 v69, v62, v56 :: v_dual_add_f32 v26, v47, v26
	v_dual_fmac_f32 v29, 0x3f4f1bbd, v53 :: v_dual_add_f32 v72, v27, v26
	v_dual_add_f32 v27, v34, v75 :: v_dual_fmac_f32 v50, 0x3e9e377a, v46
	v_add_f32_e32 v46, v51, v32
	s_delay_alu instid0(VALU_DEP_3) | instskip(SKIP_1) | instid1(VALU_DEP_4)
	v_add_f32_e32 v47, v71, v29
	v_sub_f32_e32 v51, v32, v51
	v_mul_f32_e32 v73, 0xbf167918, v50
	s_delay_alu instid0(VALU_DEP_1) | instskip(SKIP_1) | instid1(VALU_DEP_2)
	v_dual_mul_f32 v76, 0xbf4f1bbd, v50 :: v_dual_fmac_f32 v73, 0xbf4f1bbd, v52
	v_fmac_f32_e32 v74, 0x3f4f1bbd, v54
	v_fmac_f32_e32 v76, 0x3f167918, v52
	v_dual_sub_f32 v54, v71, v29 :: v_dual_add_f32 v29, v60, v58
	s_delay_alu instid0(VALU_DEP_4)
	v_add_f32_e32 v50, v1, v73
	v_sub_f32_e32 v53, v1, v73
	v_add_f32_e32 v1, v56, v30
	v_add_f32_e32 v26, v64, v67
	v_fma_f32 v65, -0.5, v29, v30
	v_add_f32_e32 v28, v70, v76
	v_dual_add_f32 v24, v72, v35 :: v_dual_sub_f32 v29, v35, v72
	v_dual_add_f32 v1, v58, v1 :: v_dual_sub_f32 v52, v33, v68
	v_sub_f32_e32 v68, v57, v63
	v_sub_f32_e32 v33, v64, v67
	;; [unrolled: 1-line block ×3, first 2 shown]
	v_add_f32_e32 v25, v66, v74
	v_sub_f32_e32 v35, v56, v58
	v_fmamk_f32 v64, v68, 0xbf737871, v65
	v_sub_f32_e32 v32, v66, v74
	v_sub_f32_e32 v66, v59, v61
	v_dual_sub_f32 v34, v34, v75 :: v_dual_fmac_f32 v65, 0x3f737871, v68
	v_dual_fmac_f32 v30, -0.5, v69 :: v_dual_sub_f32 v71, v60, v62
	v_add_f32_e32 v1, v60, v1
	v_add_f32_e32 v67, v67, v35
	v_dual_sub_f32 v35, v70, v76 :: v_dual_fmac_f32 v64, 0xbf167918, v66
	s_delay_alu instid0(VALU_DEP_4) | instskip(SKIP_3) | instid1(VALU_DEP_4)
	v_dual_fmamk_f32 v69, v66, 0x3f737871, v30 :: v_dual_add_f32 v72, v57, v31
	v_dual_sub_f32 v70, v58, v56 :: v_dual_fmac_f32 v65, 0x3f167918, v66
	v_add_f32_e32 v73, v61, v59
	v_add_f32_e32 v1, v62, v1
	v_dual_fmac_f32 v69, 0xbf167918, v68 :: v_dual_sub_f32 v56, v56, v62
	s_delay_alu instid0(VALU_DEP_4) | instskip(SKIP_4) | instid1(VALU_DEP_3)
	v_add_f32_e32 v70, v71, v70
	v_fmac_f32_e32 v64, 0x3e9e377a, v67
	v_fmac_f32_e32 v30, 0xbf737871, v66
	v_dual_add_f32 v66, v59, v72 :: v_dual_fmac_f32 v65, 0x3e9e377a, v67
	v_fma_f32 v71, -0.5, v73, v31
	v_dual_add_f32 v67, v63, v57 :: v_dual_fmac_f32 v30, 0x3f167918, v68
	s_delay_alu instid0(VALU_DEP_3) | instskip(SKIP_1) | instid1(VALU_DEP_4)
	v_add_f32_e32 v62, v61, v66
	v_sub_f32_e32 v58, v58, v60
	v_fmamk_f32 v66, v56, 0x3f737871, v71
	v_sub_f32_e32 v60, v57, v59
	v_dual_sub_f32 v68, v63, v61 :: v_dual_fmac_f32 v31, -0.5, v67
	v_fmac_f32_e32 v71, 0xbf737871, v56
	v_sub_f32_e32 v57, v59, v57
	v_sub_f32_e32 v59, v61, v63
	v_add_f32_e32 v61, v44, v36
	v_add_f32_e32 v67, v63, v62
	v_fmac_f32_e32 v66, 0x3f167918, v58
	v_dual_add_f32 v60, v68, v60 :: v_dual_fmac_f32 v71, 0xbf167918, v58
	v_fmamk_f32 v68, v58, 0xbf737871, v31
	v_dual_fmac_f32 v31, 0x3f737871, v58 :: v_dual_add_f32 v58, v38, v61
	s_wait_loadcnt 0x1
	v_sub_f32_e32 v62, v40, v42
	v_dual_fmac_f32 v30, 0x3e9e377a, v70 :: v_dual_add_f32 v57, v59, v57
	v_fmac_f32_e32 v68, 0x3f167918, v56
	v_dual_fmac_f32 v31, 0xbf167918, v56 :: v_dual_add_f32 v56, v42, v58
	v_dual_add_f32 v59, v42, v38 :: v_dual_add_f32 v58, v40, v44
	s_delay_alu instid0(VALU_DEP_3) | instskip(NEXT) | instid1(VALU_DEP_3)
	v_dual_fmac_f32 v71, 0x3e9e377a, v60 :: v_dual_fmac_f32 v68, 0x3e9e377a, v57
	v_add_f32_e32 v61, v40, v56
	v_fmac_f32_e32 v66, 0x3e9e377a, v60
	s_delay_alu instid0(VALU_DEP_4) | instskip(SKIP_4) | instid1(VALU_DEP_3)
	v_fma_f32 v59, -0.5, v59, v36
	v_dual_fmac_f32 v31, 0x3e9e377a, v57 :: v_dual_sub_f32 v56, v39, v43
	v_fmac_f32_e32 v36, -0.5, v58
	v_dual_sub_f32 v60, v45, v41 :: v_dual_sub_f32 v57, v44, v38
	v_fmac_f32_e32 v69, 0x3e9e377a, v70
	v_fmamk_f32 v63, v56, 0x3f737871, v36
	s_delay_alu instid0(VALU_DEP_3) | instskip(SKIP_1) | instid1(VALU_DEP_3)
	v_fmamk_f32 v58, v60, 0xbf737871, v59
	v_fmac_f32_e32 v59, 0x3f737871, v60
	v_fmac_f32_e32 v63, 0xbf167918, v60
	s_delay_alu instid0(VALU_DEP_3) | instskip(NEXT) | instid1(VALU_DEP_3)
	v_dual_fmac_f32 v58, 0xbf167918, v56 :: v_dual_add_f32 v57, v62, v57
	v_fmac_f32_e32 v59, 0x3f167918, v56
	v_sub_f32_e32 v70, v38, v44
	v_sub_f32_e32 v72, v42, v40
	v_fmac_f32_e32 v36, 0xbf737871, v56
	s_delay_alu instid0(VALU_DEP_4)
	v_dual_sub_f32 v40, v44, v40 :: v_dual_fmac_f32 v59, 0x3e9e377a, v57
	v_add_f32_e32 v44, v45, v37
	v_fmac_f32_e32 v58, 0x3e9e377a, v57
	v_dual_add_f32 v57, v41, v45 :: v_dual_sub_f32 v38, v38, v42
	v_add_f32_e32 v56, v43, v39
	v_add_f32_e32 v62, v72, v70
	v_sub_f32_e32 v70, v43, v41
	v_fmac_f32_e32 v36, 0x3f167918, v60
	s_delay_alu instid0(VALU_DEP_4) | instskip(SKIP_4) | instid1(VALU_DEP_3)
	v_fma_f32 v60, -0.5, v56, v37
	v_dual_fmac_f32 v37, -0.5, v57 :: v_dual_sub_f32 v56, v45, v39
	v_sub_f32_e32 v45, v39, v45
	v_sub_f32_e32 v57, v41, v43
	v_fmac_f32_e32 v63, 0x3e9e377a, v62
	v_dual_add_f32 v45, v70, v45 :: v_dual_fmac_f32 v36, 0x3e9e377a, v62
	v_fmamk_f32 v62, v38, 0xbf737871, v37
	s_delay_alu instid0(VALU_DEP_4) | instskip(NEXT) | instid1(VALU_DEP_4)
	v_dual_fmac_f32 v37, 0x3f737871, v38 :: v_dual_add_f32 v56, v57, v56
	v_mul_f32_e32 v75, 0x3f737871, v63
	s_delay_alu instid0(VALU_DEP_2) | instskip(SKIP_2) | instid1(VALU_DEP_3)
	v_fmac_f32_e32 v37, 0xbf167918, v40
	v_dual_add_f32 v39, v39, v44 :: v_dual_add_f32 v44, v61, v1
	v_mul_f32_e32 v74, 0x3f167918, v58
	v_fmac_f32_e32 v37, 0x3e9e377a, v45
	v_fmamk_f32 v42, v40, 0x3f737871, v60
	v_fmac_f32_e32 v60, 0xbf737871, v40
	s_delay_alu instid0(VALU_DEP_3) | instskip(NEXT) | instid1(VALU_DEP_2)
	v_mul_f32_e32 v76, 0xbe9e377a, v37
	v_fmac_f32_e32 v60, 0xbf167918, v38
	s_delay_alu instid0(VALU_DEP_1) | instskip(NEXT) | instid1(VALU_DEP_1)
	v_fmac_f32_e32 v60, 0x3e9e377a, v56
	v_mul_f32_e32 v73, 0xbf167918, v60
	v_fmac_f32_e32 v42, 0x3f167918, v38
	v_dual_add_f32 v38, v43, v39 :: v_dual_mul_f32 v77, 0xbf4f1bbd, v60
	v_fmac_f32_e32 v62, 0x3f167918, v40
	s_delay_alu instid0(VALU_DEP_4) | instskip(NEXT) | instid1(VALU_DEP_3)
	v_fmac_f32_e32 v73, 0xbf4f1bbd, v59
	v_add_f32_e32 v41, v41, v38
	s_delay_alu instid0(VALU_DEP_4) | instskip(NEXT) | instid1(VALU_DEP_4)
	v_fmac_f32_e32 v77, 0x3f167918, v59
	v_fmac_f32_e32 v62, 0x3e9e377a, v45
	v_sub_f32_e32 v59, v1, v61
	v_dual_add_f32 v1, v20, v18 :: v_dual_fmac_f32 v42, 0x3e9e377a, v56
	s_delay_alu instid0(VALU_DEP_3) | instskip(SKIP_1) | instid1(VALU_DEP_3)
	v_fmac_f32_e32 v75, 0x3e9e377a, v62
	v_mul_f32_e32 v70, 0xbf737871, v62
	v_fma_f32 v1, -0.5, v1, v4
	s_delay_alu instid0(VALU_DEP_4) | instskip(NEXT) | instid1(VALU_DEP_3)
	v_mul_f32_e32 v43, 0xbf167918, v42
	v_fmac_f32_e32 v70, 0x3e9e377a, v63
	v_mul_f32_e32 v72, 0xbf737871, v37
	s_delay_alu instid0(VALU_DEP_3) | instskip(SKIP_1) | instid1(VALU_DEP_4)
	v_dual_fmac_f32 v43, 0x3f4f1bbd, v58 :: v_dual_add_f32 v58, v65, v73
	v_sub_f32_e32 v63, v65, v73
	v_sub_f32_e32 v61, v69, v70
	v_add_f32_e32 v73, v21, v19
	s_delay_alu instid0(VALU_DEP_4)
	v_dual_add_f32 v45, v64, v43 :: v_dual_fmac_f32 v72, 0xbe9e377a, v36
	v_sub_f32_e32 v60, v64, v43
	v_sub_f32_e32 v43, v68, v75
	;; [unrolled: 1-line block ×3, first 2 shown]
	v_fmac_f32_e32 v76, 0x3f737871, v36
	v_add_f32_e32 v57, v30, v72
	v_sub_f32_e32 v62, v30, v72
	v_add_f32_e32 v30, v16, v4
	v_dual_add_f32 v36, v41, v67 :: v_dual_sub_f32 v41, v67, v41
	v_sub_f32_e32 v67, v16, v18
	v_fma_f32 v73, -0.5, v73, v5
	s_delay_alu instid0(VALU_DEP_4) | instskip(SKIP_3) | instid1(VALU_DEP_4)
	v_add_f32_e32 v65, v18, v30
	v_add_f32_e32 v56, v69, v70
	;; [unrolled: 1-line block ×4, first 2 shown]
	v_dual_sub_f32 v30, v31, v76 :: v_dual_add_f32 v65, v20, v65
	s_delay_alu instid0(VALU_DEP_3)
	v_dual_sub_f32 v31, v71, v77 :: v_dual_fmac_f32 v4, -0.5, v70
	v_add_f32_e32 v38, v68, v75
	v_sub_f32_e32 v68, v22, v20
	v_fmac_f32_e32 v74, 0x3f4f1bbd, v42
	v_add_f32_e32 v70, v22, v65
	v_dual_sub_f32 v65, v18, v16 :: v_dual_add_f32 v72, v17, v5
	s_delay_alu instid0(VALU_DEP_4) | instskip(SKIP_4) | instid1(VALU_DEP_4)
	v_add_f32_e32 v67, v68, v67
	v_sub_f32_e32 v68, v20, v22
	v_add_f32_e32 v37, v66, v74
	v_sub_f32_e32 v16, v16, v22
	v_sub_f32_e32 v18, v18, v20
	v_dual_sub_f32 v20, v17, v19 :: v_dual_add_f32 v65, v68, v65
	v_dual_sub_f32 v42, v66, v74 :: v_dual_fmamk_f32 v69, v64, 0xbf737871, v1
	v_dual_sub_f32 v66, v19, v21 :: v_dual_fmac_f32 v1, 0x3f737871, v64
	s_delay_alu instid0(VALU_DEP_1) | instskip(NEXT) | instid1(VALU_DEP_1)
	v_fmac_f32_e32 v1, 0x3f167918, v66
	v_fmac_f32_e32 v1, 0x3e9e377a, v67
	s_delay_alu instid0(VALU_DEP_4)
	v_dual_fmac_f32 v69, 0xbf167918, v66 :: v_dual_add_f32 v40, v71, v77
	v_fmamk_f32 v71, v66, 0x3f737871, v4
	v_fmac_f32_e32 v4, 0xbf737871, v66
	v_add_f32_e32 v66, v19, v72
	v_fmamk_f32 v72, v16, 0x3f737871, v73
	v_fmac_f32_e32 v73, 0xbf737871, v16
	v_fmac_f32_e32 v71, 0xbf167918, v64
	;; [unrolled: 1-line block ×3, first 2 shown]
	v_add_f32_e32 v64, v23, v17
	v_sub_f32_e32 v17, v19, v17
	v_fmac_f32_e32 v73, 0xbf167918, v18
	v_sub_f32_e32 v19, v21, v23
	v_fmac_f32_e32 v71, 0x3e9e377a, v65
	v_fmac_f32_e32 v5, -0.5, v64
	v_fmac_f32_e32 v69, 0x3e9e377a, v67
	s_delay_alu instid0(VALU_DEP_4) | instskip(SKIP_1) | instid1(VALU_DEP_4)
	v_add_f32_e32 v17, v19, v17
	v_add_f32_e32 v19, v10, v12
	v_fmamk_f32 v74, v18, 0xbf737871, v5
	v_fmac_f32_e32 v5, 0x3f737871, v18
	v_add_f32_e32 v22, v21, v66
	v_dual_sub_f32 v66, v23, v21 :: v_dual_add_f32 v21, v14, v6
	s_delay_alu instid0(VALU_DEP_1) | instskip(SKIP_2) | instid1(VALU_DEP_2)
	v_add_f32_e32 v20, v66, v20
	s_wait_loadcnt 0x0
	v_sub_f32_e32 v66, v10, v8
	v_fmac_f32_e32 v73, 0x3e9e377a, v20
	v_fmac_f32_e32 v74, 0x3f167918, v16
	;; [unrolled: 1-line block ×3, first 2 shown]
	s_delay_alu instid0(VALU_DEP_2) | instskip(NEXT) | instid1(VALU_DEP_2)
	v_fmac_f32_e32 v74, 0x3e9e377a, v17
	v_fmac_f32_e32 v5, 0x3e9e377a, v17
	v_dual_sub_f32 v17, v13, v11 :: v_dual_fmac_f32 v72, 0x3f167918, v18
	v_dual_add_f32 v18, v12, v21 :: v_dual_sub_f32 v21, v14, v12
	s_delay_alu instid0(VALU_DEP_1) | instskip(SKIP_4) | instid1(VALU_DEP_3)
	v_add_f32_e32 v16, v10, v18
	v_fma_f32 v18, -0.5, v19, v6
	v_dual_add_f32 v19, v8, v14 :: v_dual_fmac_f32 v4, 0x3e9e377a, v65
	v_dual_sub_f32 v65, v12, v14 :: v_dual_fmac_f32 v72, 0x3e9e377a, v20
	v_sub_f32_e32 v20, v15, v9
	v_fmac_f32_e32 v6, -0.5, v19
	s_delay_alu instid0(VALU_DEP_2) | instskip(NEXT) | instid1(VALU_DEP_2)
	v_dual_fmamk_f32 v19, v20, 0xbf737871, v18 :: v_dual_add_f32 v22, v23, v22
	v_dual_sub_f32 v23, v8, v10 :: v_dual_fmamk_f32 v64, v17, 0x3f737871, v6
	s_delay_alu instid0(VALU_DEP_2) | instskip(SKIP_1) | instid1(VALU_DEP_3)
	v_dual_sub_f32 v10, v12, v10 :: v_dual_fmac_f32 v19, 0xbf167918, v17
	v_sub_f32_e32 v12, v15, v13
	v_dual_add_f32 v21, v23, v21 :: v_dual_fmac_f32 v64, 0xbf167918, v20
	v_add_f32_e32 v23, v66, v65
	v_dual_sub_f32 v65, v11, v9 :: v_dual_fmac_f32 v18, 0x3f737871, v20
	s_delay_alu instid0(VALU_DEP_3) | instskip(SKIP_3) | instid1(VALU_DEP_2)
	v_dual_fmac_f32 v19, 0x3e9e377a, v21 :: v_dual_add_f32 v16, v8, v16
	v_sub_f32_e32 v8, v14, v8
	v_fmac_f32_e32 v6, 0xbf737871, v17
	v_add_f32_e32 v14, v15, v7
	v_fmac_f32_e32 v6, 0x3f167918, v20
	v_add_f32_e32 v20, v9, v15
	v_sub_f32_e32 v15, v13, v15
	s_delay_alu instid0(VALU_DEP_1) | instskip(SKIP_1) | instid1(VALU_DEP_1)
	v_dual_add_f32 v15, v65, v15 :: v_dual_fmac_f32 v18, 0x3f167918, v17
	v_add_f32_e32 v17, v11, v13
	v_fma_f32 v17, -0.5, v17, v7
	v_fmac_f32_e32 v7, -0.5, v20
	s_delay_alu instid0(VALU_DEP_2) | instskip(SKIP_1) | instid1(VALU_DEP_1)
	v_fmamk_f32 v20, v8, 0x3f737871, v17
	v_fmac_f32_e32 v17, 0xbf737871, v8
	v_fmac_f32_e32 v17, 0xbf167918, v10
	;; [unrolled: 1-line block ×4, first 2 shown]
	v_fmamk_f32 v23, v10, 0xbf737871, v7
	v_fmac_f32_e32 v7, 0x3f737871, v10
	s_delay_alu instid0(VALU_DEP_2) | instskip(NEXT) | instid1(VALU_DEP_2)
	v_fmac_f32_e32 v23, 0x3f167918, v8
	v_fmac_f32_e32 v7, 0xbf167918, v8
	v_dual_fmac_f32 v18, 0x3e9e377a, v21 :: v_dual_sub_f32 v21, v9, v11
	s_delay_alu instid0(VALU_DEP_3) | instskip(NEXT) | instid1(VALU_DEP_2)
	v_fmac_f32_e32 v23, 0x3e9e377a, v15
	v_dual_fmac_f32 v7, 0x3e9e377a, v15 :: v_dual_add_f32 v12, v21, v12
	s_delay_alu instid0(VALU_DEP_2) | instskip(NEXT) | instid1(VALU_DEP_2)
	v_mul_f32_e32 v15, 0xbf737871, v23
	v_mul_f32_e32 v21, 0xbf737871, v7
	s_delay_alu instid0(VALU_DEP_3)
	v_fmac_f32_e32 v17, 0x3e9e377a, v12
	v_mul_f32_e32 v77, 0x3f737871, v64
	v_fmac_f32_e32 v20, 0x3f167918, v10
	v_fmac_f32_e32 v15, 0x3e9e377a, v64
	v_fmac_f32_e32 v21, 0xbe9e377a, v6
	v_mul_f32_e32 v76, 0xbf167918, v17
	v_mul_f32_e32 v17, 0xbf4f1bbd, v17
	v_dual_fmac_f32 v20, 0x3e9e377a, v12 :: v_dual_fmac_f32 v77, 0x3e9e377a, v23
	v_add_f32_e32 v8, v13, v14
	v_mul_f32_e32 v78, 0xbe9e377a, v7
	s_delay_alu instid0(VALU_DEP_4) | instskip(NEXT) | instid1(VALU_DEP_4)
	v_fmac_f32_e32 v17, 0x3f167918, v18
	v_mul_f32_e32 v14, 0xbf167918, v20
	v_sub_f32_e32 v13, v70, v16
	v_add_f32_e32 v66, v74, v77
	v_fmac_f32_e32 v78, 0x3f737871, v6
	v_add_f32_e32 v68, v73, v17
	v_fmac_f32_e32 v14, 0x3f4f1bbd, v19
	v_mul_f32_e32 v19, 0x3f167918, v19
	v_sub_f32_e32 v73, v73, v17
	v_add_f32_e32 v67, v5, v78
	s_delay_alu instid0(VALU_DEP_4) | instskip(NEXT) | instid1(VALU_DEP_4)
	v_dual_sub_f32 v7, v71, v15 :: v_dual_sub_f32 v6, v69, v14
	v_fmac_f32_e32 v19, 0x3f4f1bbd, v20
	v_dual_add_f32 v8, v11, v8 :: v_dual_add_f32 v11, v4, v21
	s_delay_alu instid0(VALU_DEP_2) | instskip(NEXT) | instid1(VALU_DEP_2)
	v_add_f32_e32 v65, v72, v19
	v_dual_add_f32 v75, v9, v8 :: v_dual_add_f32 v8, v16, v70
	v_mul_u32_u24_e32 v16, 10, v0
	v_add_f32_e32 v9, v69, v14
	s_delay_alu instid0(VALU_DEP_3) | instskip(SKIP_1) | instid1(VALU_DEP_4)
	v_dual_fmac_f32 v76, 0xbf4f1bbd, v18 :: v_dual_sub_f32 v69, v22, v75
	v_sub_f32_e32 v14, v4, v21
	v_lshl_add_u32 v21, v16, 2, 0
	s_delay_alu instid0(VALU_DEP_3) | instskip(SKIP_1) | instid1(VALU_DEP_3)
	v_dual_add_f32 v10, v71, v15 :: v_dual_sub_f32 v15, v1, v76
	v_dual_sub_f32 v71, v74, v77 :: v_dual_add_f32 v12, v1, v76
	v_add_nc_u32_e32 v74, 0x1518, v21
	v_dual_add_f32 v64, v75, v22 :: v_dual_add_nc_u32 v77, 0x2a40, v21
	v_add_nc_u32_e32 v75, 0x1528, v21
	v_add_nc_u32_e32 v76, 0x2a30, v21
	ds_store_2addr_b64 v21, v[46:47], v[48:49] offset1:1
	ds_store_2addr_b64 v21, v[50:51], v[54:55] offset0:2 offset1:3
	ds_store_2addr_b64 v74, v[44:45], v[56:57] offset1:1
	ds_store_2addr_b64 v75, v[58:59], v[60:61] offset1:1
	;; [unrolled: 1-line block ×4, first 2 shown]
	ds_store_b64 v21, v[52:53] offset:32
	ds_store_b64 v21, v[62:63] offset:5432
	;; [unrolled: 1-line block ×3, first 2 shown]
	v_and_b32_e32 v63, 0xff, v0
	v_mad_i32_i24 v1, 0xffffffdc, v0, v21
	v_sub_f32_e32 v70, v72, v19
	v_sub_f32_e32 v72, v5, v78
	global_wb scope:SCOPE_SE
	s_wait_dscnt 0x0
	v_mul_lo_u16 v20, 0xcd, v63
	v_add_nc_u32_e32 v49, 0x2500, v1
	v_add_nc_u32_e32 v61, 0xc00, v1
	v_add_nc_u32_e32 v45, 0x1800, v1
	v_add_nc_u32_e32 v46, 0x3200, v1
	v_lshrrev_b16 v22, 11, v20
	v_add_nc_u32_e32 v47, 0x400, v1
	s_barrier_signal -1
	s_barrier_wait -1
	global_inv scope:SCOPE_SE
	v_mul_lo_u16 v56, v22, 10
	ds_load_2addr_b32 v[6:7], v1 offset1:135
	ds_load_2addr_b32 v[16:17], v61 offset0:42 offset1:177
	v_add_nc_u32_e32 v23, 0x1000, v1
	v_add_nc_u32_e32 v50, 0x1c00, v1
	ds_load_2addr_b32 v[18:19], v45 offset0:84 offset1:219
	ds_load_2addr_b32 v[14:15], v49 offset0:62 offset1:197
	;; [unrolled: 1-line block ×5, first 2 shown]
	v_sub_nc_u16 v56, v0, v56
	v_add_nc_u32_e32 v44, 0x2a00, v1
	v_add_nc_u32_e32 v51, 0x3600, v1
	;; [unrolled: 1-line block ×4, first 2 shown]
	v_and_b32_e32 v136, 0xff, v56
	v_add_nc_u32_e32 v54, 0x2000, v1
	v_add_nc_u32_e32 v53, 0x2e00, v1
	ds_load_2addr_b32 v[120:121], v50 offset0:98 offset1:233
	ds_load_2addr_b32 v[122:123], v44 offset0:12 offset1:147
	;; [unrolled: 1-line block ×4, first 2 shown]
	v_add_nc_u32_e32 v55, 0x3a00, v1
	v_add_nc_u32_e32 v59, 0x87, v0
	ds_load_2addr_b32 v[126:127], v48 offset0:70 offset1:205
	ds_load_2addr_b32 v[128:129], v54 offset0:112 offset1:247
	;; [unrolled: 1-line block ×4, first 2 shown]
	global_wb scope:SCOPE_SE
	s_wait_dscnt 0x0
	s_barrier_signal -1
	s_barrier_wait -1
	global_inv scope:SCOPE_SE
	ds_store_2addr_b64 v21, v[24:25], v[26:27] offset1:1
	ds_store_2addr_b64 v21, v[28:29], v[32:33] offset0:2 offset1:3
	v_lshlrev_b32_e32 v26, 5, v136
	ds_store_2addr_b64 v74, v[36:37], v[38:39] offset1:1
	ds_store_2addr_b64 v75, v[40:41], v[42:43] offset1:1
	;; [unrolled: 1-line block ×4, first 2 shown]
	ds_store_b64 v21, v[34:35] offset:32
	ds_store_b64 v21, v[30:31] offset:5432
	;; [unrolled: 1-line block ×3, first 2 shown]
	global_wb scope:SCOPE_SE
	s_wait_dscnt 0x0
	s_barrier_signal -1
	s_barrier_wait -1
	global_inv scope:SCOPE_SE
	s_clause 0x1
	global_load_b128 v[32:35], v26, s[4:5]
	global_load_b128 v[40:43], v26, s[4:5] offset:16
	v_and_b32_e32 v20, 0xffff, v59
	v_add_nc_u32_e32 v60, 0x10e, v0
	s_delay_alu instid0(VALU_DEP_2) | instskip(NEXT) | instid1(VALU_DEP_1)
	v_mul_u32_u24_e32 v20, 0xcccd, v20
	v_lshrrev_b32_e32 v20, 19, v20
	s_delay_alu instid0(VALU_DEP_1) | instskip(NEXT) | instid1(VALU_DEP_1)
	v_mul_lo_u16 v24, v20, 10
	v_sub_nc_u16 v21, v59, v24
	v_and_b32_e32 v24, 0xffff, v60
	s_delay_alu instid0(VALU_DEP_2) | instskip(NEXT) | instid1(VALU_DEP_2)
	v_and_b32_e32 v21, 0xffff, v21
	v_mul_u32_u24_e32 v24, 0xcccd, v24
	s_delay_alu instid0(VALU_DEP_2) | instskip(NEXT) | instid1(VALU_DEP_2)
	v_lshlrev_b32_e32 v27, 5, v21
	v_lshrrev_b32_e32 v25, 19, v24
	s_clause 0x1
	global_load_b128 v[36:39], v27, s[4:5]
	global_load_b128 v[64:67], v27, s[4:5] offset:16
	v_add_nc_u32_e32 v56, 0x195, v0
	v_add_nc_u32_e32 v57, 0x21c, v0
	s_delay_alu instid0(VALU_DEP_2) | instskip(NEXT) | instid1(VALU_DEP_1)
	v_and_b32_e32 v28, 0xffff, v56
	v_mul_u32_u24_e32 v24, 0xcccd, v28
	v_mul_lo_u16 v28, v25, 10
	s_delay_alu instid0(VALU_DEP_2) | instskip(NEXT) | instid1(VALU_DEP_2)
	v_lshrrev_b32_e32 v24, 19, v24
	v_sub_nc_u16 v26, v60, v28
	s_delay_alu instid0(VALU_DEP_2) | instskip(NEXT) | instid1(VALU_DEP_2)
	v_mul_lo_u16 v28, v24, 10
	v_and_b32_e32 v26, 0xffff, v26
	s_delay_alu instid0(VALU_DEP_2) | instskip(NEXT) | instid1(VALU_DEP_2)
	v_sub_nc_u16 v27, v56, v28
	v_lshlrev_b32_e32 v29, 5, v26
	v_and_b32_e32 v28, 0xffff, v57
	s_delay_alu instid0(VALU_DEP_3)
	v_and_b32_e32 v27, 0xffff, v27
	s_clause 0x1
	global_load_b128 v[72:75], v29, s[4:5]
	global_load_b128 v[96:99], v29, s[4:5] offset:16
	v_add_nc_u32_e32 v58, 0x2a3, v0
	v_mul_u32_u24_e32 v28, 0xcccd, v28
	v_lshlrev_b32_e32 v30, 5, v27
	s_delay_alu instid0(VALU_DEP_3) | instskip(NEXT) | instid1(VALU_DEP_3)
	v_and_b32_e32 v31, 0xffff, v58
	v_lshrrev_b32_e32 v28, 19, v28
	s_clause 0x1
	global_load_b128 v[92:95], v30, s[4:5]
	global_load_b128 v[100:103], v30, s[4:5] offset:16
	v_mul_u32_u24_e32 v31, 0xcccd, v31
	v_mul_lo_u16 v62, v28, 10
	s_delay_alu instid0(VALU_DEP_2) | instskip(NEXT) | instid1(VALU_DEP_2)
	v_lshrrev_b32_e32 v29, 19, v31
	v_sub_nc_u16 v31, v57, v62
	s_delay_alu instid0(VALU_DEP_2) | instskip(NEXT) | instid1(VALU_DEP_2)
	v_mul_lo_u16 v62, v29, 10
	v_and_b32_e32 v30, 0xffff, v31
	s_delay_alu instid0(VALU_DEP_2) | instskip(NEXT) | instid1(VALU_DEP_2)
	v_sub_nc_u16 v31, v58, v62
	v_lshlrev_b32_e32 v62, 5, v30
	s_delay_alu instid0(VALU_DEP_2)
	v_and_b32_e32 v31, 0xffff, v31
	global_load_b128 v[104:107], v62, s[4:5]
	v_lshlrev_b32_e32 v68, 5, v31
	s_clause 0x2
	global_load_b128 v[108:111], v68, s[4:5]
	global_load_b128 v[112:115], v62, s[4:5] offset:16
	global_load_b128 v[116:119], v68, s[4:5] offset:16
	ds_load_2addr_b32 v[61:62], v61 offset0:42 offset1:177
	ds_load_2addr_b32 v[68:69], v45 offset0:84 offset1:219
	;; [unrolled: 1-line block ×3, first 2 shown]
	s_wait_loadcnt_dscnt 0xb02
	v_mul_f32_e32 v87, v61, v33
	v_mul_f32_e32 v33, v16, v33
	s_wait_dscnt 0x1
	v_mul_f32_e32 v86, v68, v35
	v_mul_f32_e32 v35, v18, v35
	s_wait_loadcnt_dscnt 0xa00
	v_mul_f32_e32 v89, v70, v41
	v_fmac_f32_e32 v87, v16, v32
	v_fma_f32 v84, v61, v32, -v33
	v_fmac_f32_e32 v86, v18, v34
	v_fma_f32 v85, v68, v34, -v35
	v_fmac_f32_e32 v89, v14, v40
	s_wait_loadcnt 0x9
	v_mul_f32_e32 v79, v62, v37
	v_mul_f32_e32 v16, v17, v37
	;; [unrolled: 1-line block ×3, first 2 shown]
	ds_load_2addr_b32 v[134:135], v46 offset0:40 offset1:175
	v_dual_mul_f32 v32, v19, v39 :: v_dual_fmac_f32 v79, v17, v36
	v_fma_f32 v76, v62, v36, -v16
	ds_load_2addr_b32 v[16:17], v23 offset0:56 offset1:191
	v_fmac_f32_e32 v77, v19, v38
	ds_load_2addr_b32 v[18:19], v50 offset0:98 offset1:233
	v_mul_f32_e32 v23, v14, v41
	s_wait_loadcnt 0x8
	v_mul_f32_e32 v14, v15, v65
	v_fma_f32 v78, v69, v38, -v32
	v_dual_mul_f32 v32, v12, v43 :: v_dual_mul_f32 v81, v71, v65
	v_fma_f32 v88, v70, v40, -v23
	v_mul_f32_e32 v23, v13, v67
	v_fma_f32 v80, v71, v64, -v14
	s_delay_alu instid0(VALU_DEP_4)
	v_fmac_f32_e32 v81, v15, v64
	ds_load_2addr_b32 v[14:15], v51 offset0:54 offset1:189
	s_wait_dscnt 0x3
	v_mul_f32_e32 v91, v134, v43
	v_mul_f32_e32 v83, v135, v67
	v_fma_f32 v82, v135, v66, -v23
	v_fma_f32 v90, v134, v42, -v32
	s_delay_alu instid0(VALU_DEP_4) | instskip(NEXT) | instid1(VALU_DEP_4)
	v_fmac_f32_e32 v91, v12, v42
	v_fmac_f32_e32 v83, v13, v66
	ds_load_2addr_b32 v[12:13], v44 offset0:12 offset1:147
	s_wait_loadcnt_dscnt 0x703
	v_mul_f32_e32 v71, v16, v73
	v_dual_mul_f32 v23, v120, v75 :: v_dual_mul_f32 v32, v10, v73
	s_wait_dscnt 0x2
	v_mul_f32_e32 v69, v18, v75
	s_delay_alu instid0(VALU_DEP_3) | instskip(NEXT) | instid1(VALU_DEP_3)
	v_fmac_f32_e32 v71, v10, v72
	v_fma_f32 v68, v16, v72, -v32
	s_wait_loadcnt 0x5
	s_delay_alu instid0(VALU_DEP_3) | instskip(SKIP_3) | instid1(VALU_DEP_4)
	v_dual_fmac_f32 v69, v120, v74 :: v_dual_mul_f32 v10, v11, v93
	v_fma_f32 v70, v18, v74, -v23
	v_mul_f32_e32 v18, v121, v95
	v_dual_mul_f32 v62, v17, v93 :: v_dual_mul_f32 v43, v19, v95
	v_fma_f32 v42, v17, v92, -v10
	v_mul_f32_e32 v10, v122, v97
	s_delay_alu instid0(VALU_DEP_4)
	v_fma_f32 v61, v19, v94, -v18
	ds_load_2addr_b32 v[18:19], v54 offset0:112 offset1:247
	v_fmac_f32_e32 v62, v11, v92
	ds_load_2addr_b32 v[16:17], v48 offset0:70 offset1:205
	ds_load_2addr_b32 v[92:93], v53 offset0:26 offset1:161
	v_fmac_f32_e32 v43, v121, v94
	v_mul_f32_e32 v11, v124, v99
	s_wait_dscnt 0x3
	v_fma_f32 v72, v12, v96, -v10
	s_wait_loadcnt 0x4
	v_mul_f32_e32 v10, v123, v101
	v_mul_f32_e32 v73, v12, v97
	v_dual_mul_f32 v75, v14, v99 :: v_dual_mul_f32 v64, v13, v101
	ds_load_2addr_b32 v[94:95], v55 offset0:68 offset1:203
	v_fma_f32 v65, v13, v100, -v10
	v_sub_f32_e32 v99, v86, v87
	v_dual_fmac_f32 v75, v124, v98 :: v_dual_fmac_f32 v64, v123, v100
	s_wait_loadcnt 0x3
	v_mul_f32_e32 v10, v126, v105
	v_fma_f32 v74, v14, v98, -v11
	v_mul_f32_e32 v11, v125, v103
	v_sub_f32_e32 v100, v89, v91
	s_wait_dscnt 0x3
	v_mul_f32_e32 v36, v18, v107
	v_mul_f32_e32 v67, v15, v103
	s_wait_dscnt 0x2
	v_fma_f32 v34, v16, v104, -v10
	s_wait_loadcnt 0x2
	v_mul_f32_e32 v13, v17, v109
	s_wait_loadcnt 0x1
	v_mul_f32_e32 v14, v130, v113
	v_fma_f32 v66, v15, v102, -v11
	s_wait_loadcnt_dscnt 0x1
	v_dual_mul_f32 v11, v128, v107 :: v_dual_mul_f32 v32, v93, v117
	v_mul_f32_e32 v37, v16, v105
	v_fmac_f32_e32 v36, v128, v106
	v_fmac_f32_e32 v67, v125, v102
	s_delay_alu instid0(VALU_DEP_4) | instskip(SKIP_4) | instid1(VALU_DEP_4)
	v_fma_f32 v35, v18, v106, -v11
	v_dual_mul_f32 v11, v19, v111 :: v_dual_add_f32 v16, v86, v89
	v_fma_f32 v38, v92, v112, -v14
	v_mul_f32_e32 v14, v131, v117
	v_dual_mul_f32 v39, v92, v113 :: v_dual_sub_f32 v18, v87, v86
	v_fmac_f32_e32 v11, v129, v110
	v_dual_fmac_f32 v73, v122, v96 :: v_dual_mul_f32 v10, v127, v109
	s_delay_alu instid0(VALU_DEP_4)
	v_fma_f32 v14, v93, v116, -v14
	v_fma_f32 v93, -0.5, v16, v6
	v_and_b32_e32 v16, 0xffff, v22
	v_dual_sub_f32 v22, v91, v89 :: v_dual_fmac_f32 v39, v130, v112
	v_fma_f32 v10, v17, v108, -v10
	s_wait_dscnt 0x0
	v_dual_mul_f32 v41, v94, v115 :: v_dual_sub_f32 v96, v85, v88
	s_delay_alu instid0(VALU_DEP_3)
	v_dual_add_f32 v97, v18, v22 :: v_dual_add_f32 v18, v87, v91
	v_add_f32_e32 v17, v6, v87
	ds_load_2addr_b32 v[22:23], v1 offset1:135
	v_mul_f32_e32 v12, v129, v111
	v_fmac_f32_e32 v32, v131, v116
	v_fma_f32 v6, -0.5, v18, v6
	v_mul_f32_e32 v15, v132, v115
	v_fmac_f32_e32 v37, v126, v104
	v_fma_f32 v12, v19, v110, -v12
	v_fmac_f32_e32 v41, v132, v114
	v_fmamk_f32 v101, v96, 0x3f737871, v6
	v_fmac_f32_e32 v6, 0xbf737871, v96
	v_fma_f32 v40, v94, v114, -v15
	v_dual_mul_f32 v15, v133, v119 :: v_dual_sub_f32 v94, v84, v90
	v_mul_f32_e32 v33, v95, v119
	v_add_f32_e32 v17, v17, v86
	v_mul_u32_u24_e32 v16, 0xc8, v16
	s_delay_alu instid0(VALU_DEP_4)
	v_fma_f32 v19, v95, v118, -v15
	v_fmamk_f32 v95, v94, 0xbf737871, v93
	v_fmac_f32_e32 v93, 0x3f737871, v94
	v_lshlrev_b32_e32 v15, 2, v136
	v_add_f32_e32 v99, v99, v100
	v_fmac_f32_e32 v101, 0xbf167918, v94
	v_fmac_f32_e32 v95, 0xbf167918, v96
	v_dual_fmac_f32 v6, 0x3f167918, v94 :: v_dual_fmac_f32 v93, 0x3f167918, v96
	v_dual_sub_f32 v96, v90, v88 :: v_dual_add_f32 v17, v17, v89
	v_fmac_f32_e32 v13, v127, v108
	s_delay_alu instid0(VALU_DEP_3) | instskip(SKIP_1) | instid1(VALU_DEP_4)
	v_dual_fmac_f32 v33, v133, v118 :: v_dual_fmac_f32 v6, 0x3e9e377a, v99
	v_add3_u32 v92, 0, v16, v15
	v_dual_add_f32 v98, v17, v91 :: v_dual_fmac_f32 v95, 0x3e9e377a, v97
	s_wait_dscnt 0x0
	v_dual_fmac_f32 v101, 0x3e9e377a, v99 :: v_dual_add_f32 v94, v22, v84
	ds_load_2addr_b32 v[17:18], v47 offset0:14 offset1:149
	ds_load_2addr_b32 v[15:16], v52 offset0:28 offset1:163
	global_wb scope:SCOPE_SE
	s_wait_dscnt 0x0
	s_barrier_signal -1
	s_barrier_wait -1
	global_inv scope:SCOPE_SE
	ds_store_2addr_b32 v92, v98, v95 offset1:10
	ds_store_2addr_b32 v92, v101, v6 offset0:20 offset1:30
	v_dual_add_f32 v6, v85, v88 :: v_dual_sub_f32 v95, v87, v91
	v_add_f32_e32 v91, v94, v85
	v_sub_f32_e32 v94, v84, v85
	s_delay_alu instid0(VALU_DEP_3) | instskip(NEXT) | instid1(VALU_DEP_3)
	v_fma_f32 v87, -0.5, v6, v22
	v_dual_sub_f32 v6, v86, v89 :: v_dual_add_f32 v89, v91, v88
	s_delay_alu instid0(VALU_DEP_3) | instskip(SKIP_1) | instid1(VALU_DEP_4)
	v_dual_add_f32 v91, v84, v90 :: v_dual_add_f32 v94, v94, v96
	v_sub_f32_e32 v96, v78, v80
	v_fmamk_f32 v86, v95, 0x3f737871, v87
	s_delay_alu instid0(VALU_DEP_3) | instskip(SKIP_2) | instid1(VALU_DEP_4)
	v_fma_f32 v91, -0.5, v91, v22
	v_dual_sub_f32 v22, v85, v84 :: v_dual_sub_f32 v85, v88, v90
	v_sub_f32_e32 v88, v83, v81
	v_fmac_f32_e32 v86, 0x3f167918, v6
	s_delay_alu instid0(VALU_DEP_4) | instskip(NEXT) | instid1(VALU_DEP_4)
	v_fmamk_f32 v84, v6, 0xbf737871, v91
	v_add_f32_e32 v22, v22, v85
	s_delay_alu instid0(VALU_DEP_3) | instskip(NEXT) | instid1(VALU_DEP_3)
	v_dual_sub_f32 v85, v79, v77 :: v_dual_fmac_f32 v86, 0x3e9e377a, v94
	v_fmac_f32_e32 v84, 0x3f167918, v95
	v_fmac_f32_e32 v93, 0x3e9e377a, v97
	v_sub_f32_e32 v97, v81, v83
	v_fmac_f32_e32 v87, 0xbf737871, v95
	s_delay_alu instid0(VALU_DEP_4) | instskip(NEXT) | instid1(VALU_DEP_2)
	v_dual_add_f32 v85, v85, v88 :: v_dual_fmac_f32 v84, 0x3e9e377a, v22
	v_dual_add_f32 v88, v7, v79 :: v_dual_fmac_f32 v87, 0xbf167918, v6
	s_delay_alu instid0(VALU_DEP_1) | instskip(NEXT) | instid1(VALU_DEP_2)
	v_dual_add_f32 v88, v88, v77 :: v_dual_fmac_f32 v91, 0x3f737871, v6
	v_dual_fmac_f32 v87, 0x3e9e377a, v94 :: v_dual_add_f32 v6, v77, v81
	v_add_f32_e32 v94, v79, v83
	ds_store_b32 v92, v93 offset:160
	v_fmac_f32_e32 v91, 0xbf167918, v95
	v_fma_f32 v6, -0.5, v6, v7
	s_delay_alu instid0(VALU_DEP_2) | instskip(SKIP_3) | instid1(VALU_DEP_4)
	v_dual_fmac_f32 v91, 0x3e9e377a, v22 :: v_dual_add_f32 v22, v88, v81
	v_dual_fmac_f32 v7, -0.5, v94 :: v_dual_sub_f32 v94, v77, v79
	v_sub_f32_e32 v77, v77, v81
	v_sub_f32_e32 v79, v79, v83
	v_dual_add_f32 v22, v22, v83 :: v_dual_add_f32 v89, v89, v90
	s_delay_alu instid0(VALU_DEP_4) | instskip(SKIP_3) | instid1(VALU_DEP_3)
	v_fmamk_f32 v98, v96, 0x3f737871, v7
	v_dual_sub_f32 v90, v76, v82 :: v_dual_fmac_f32 v7, 0xbf737871, v96
	v_dual_add_f32 v83, v78, v80 :: v_dual_sub_f32 v88, v76, v78
	v_add_f32_e32 v94, v94, v97
	v_fmamk_f32 v95, v90, 0xbf737871, v6
	v_fmac_f32_e32 v6, 0x3f737871, v90
	v_fmac_f32_e32 v98, 0xbf167918, v90
	v_dual_fmac_f32 v7, 0x3f167918, v90 :: v_dual_sub_f32 v90, v82, v80
	v_fma_f32 v83, -0.5, v83, v23
	s_delay_alu instid0(VALU_DEP_4) | instskip(NEXT) | instid1(VALU_DEP_4)
	v_fmac_f32_e32 v6, 0x3f167918, v96
	v_fmac_f32_e32 v98, 0x3e9e377a, v94
	s_delay_alu instid0(VALU_DEP_4) | instskip(NEXT) | instid1(VALU_DEP_4)
	v_dual_add_f32 v81, v88, v90 :: v_dual_add_f32 v90, v71, v75
	v_fmamk_f32 v88, v79, 0x3f737871, v83
	s_delay_alu instid0(VALU_DEP_4) | instskip(NEXT) | instid1(VALU_DEP_2)
	v_fmac_f32_e32 v6, 0x3e9e377a, v85
	v_fmac_f32_e32 v88, 0x3f167918, v77
	;; [unrolled: 1-line block ×3, first 2 shown]
	v_dual_add_f32 v94, v76, v82 :: v_dual_fmac_f32 v95, 0xbf167918, v96
	v_dual_fmac_f32 v83, 0xbf737871, v79 :: v_dual_sub_f32 v96, v70, v72
	s_delay_alu instid0(VALU_DEP_4) | instskip(NEXT) | instid1(VALU_DEP_3)
	v_fmac_f32_e32 v88, 0x3e9e377a, v81
	v_fmac_f32_e32 v95, 0x3e9e377a, v85
	v_add_f32_e32 v85, v23, v76
	v_dual_fmac_f32 v23, -0.5, v94 :: v_dual_sub_f32 v76, v78, v76
	v_fmac_f32_e32 v83, 0xbf167918, v77
	s_delay_alu instid0(VALU_DEP_3) | instskip(NEXT) | instid1(VALU_DEP_1)
	v_add_f32_e32 v85, v85, v78
	v_dual_add_f32 v85, v85, v80 :: v_dual_sub_f32 v80, v80, v82
	s_delay_alu instid0(VALU_DEP_1) | instskip(SKIP_2) | instid1(VALU_DEP_4)
	v_add_f32_e32 v78, v85, v82
	v_add_f32_e32 v85, v69, v73
	v_fmamk_f32 v82, v77, 0xbf737871, v23
	v_dual_fmac_f32 v23, 0x3f737871, v77 :: v_dual_add_f32 v76, v76, v80
	v_sub_f32_e32 v80, v68, v74
	s_delay_alu instid0(VALU_DEP_4) | instskip(NEXT) | instid1(VALU_DEP_4)
	v_fma_f32 v77, -0.5, v85, v4
	v_dual_fmac_f32 v82, 0x3f167918, v79 :: v_dual_sub_f32 v85, v75, v73
	s_delay_alu instid0(VALU_DEP_4) | instskip(NEXT) | instid1(VALU_DEP_3)
	v_fmac_f32_e32 v23, 0xbf167918, v79
	v_fmamk_f32 v94, v80, 0xbf737871, v77
	s_delay_alu instid0(VALU_DEP_3) | instskip(SKIP_1) | instid1(VALU_DEP_4)
	v_fmac_f32_e32 v82, 0x3e9e377a, v76
	v_fmac_f32_e32 v77, 0x3f737871, v80
	;; [unrolled: 1-line block ×3, first 2 shown]
	v_add_f32_e32 v76, v17, v68
	v_fmac_f32_e32 v94, 0xbf167918, v96
	v_fmac_f32_e32 v83, 0x3e9e377a, v81
	v_sub_f32_e32 v81, v71, v69
	s_delay_alu instid0(VALU_DEP_1)
	v_add_f32_e32 v79, v81, v85
	v_fma_f32 v81, -0.5, v90, v4
	v_add_f32_e32 v4, v4, v71
	v_sub_f32_e32 v85, v69, v71
	v_sub_f32_e32 v90, v73, v75
	;; [unrolled: 1-line block ×3, first 2 shown]
	v_fmamk_f32 v97, v96, 0x3f737871, v81
	v_add_f32_e32 v4, v4, v69
	v_sub_f32_e32 v69, v69, v73
	s_delay_alu instid0(VALU_DEP_2) | instskip(NEXT) | instid1(VALU_DEP_1)
	v_dual_fmac_f32 v81, 0xbf737871, v96 :: v_dual_add_f32 v4, v4, v73
	v_add_f32_e32 v4, v4, v75
	v_add_f32_e32 v75, v76, v70
	v_dual_sub_f32 v76, v68, v70 :: v_dual_fmac_f32 v77, 0x3f167918, v96
	s_delay_alu instid0(VALU_DEP_2) | instskip(SKIP_1) | instid1(VALU_DEP_3)
	v_dual_fmac_f32 v94, 0x3e9e377a, v79 :: v_dual_add_f32 v73, v75, v72
	v_add_f32_e32 v75, v68, v74
	v_fmac_f32_e32 v77, 0x3e9e377a, v79
	s_delay_alu instid0(VALU_DEP_3) | instskip(NEXT) | instid1(VALU_DEP_3)
	v_add_f32_e32 v73, v73, v74
	v_fma_f32 v75, -0.5, v75, v17
	v_add_f32_e32 v79, v70, v72
	s_delay_alu instid0(VALU_DEP_1) | instskip(SKIP_1) | instid1(VALU_DEP_4)
	v_fma_f32 v79, -0.5, v79, v17
	v_dual_sub_f32 v17, v70, v68 :: v_dual_sub_f32 v68, v72, v74
	v_fmamk_f32 v70, v69, 0xbf737871, v75
	v_fmac_f32_e32 v81, 0x3f167918, v80
	s_delay_alu instid0(VALU_DEP_3) | instskip(SKIP_4) | instid1(VALU_DEP_3)
	v_dual_add_f32 v17, v17, v68 :: v_dual_sub_f32 v68, v62, v43
	v_fmac_f32_e32 v97, 0xbf167918, v80
	v_sub_f32_e32 v80, v74, v72
	v_sub_f32_e32 v74, v42, v66
	v_dual_add_f32 v85, v85, v90 :: v_dual_sub_f32 v90, v64, v67
	v_dual_fmac_f32 v75, 0x3f737871, v69 :: v_dual_add_f32 v76, v76, v80
	v_fmamk_f32 v80, v71, 0x3f737871, v79
	v_fmac_f32_e32 v79, 0xbf737871, v71
	s_delay_alu instid0(VALU_DEP_4) | instskip(NEXT) | instid1(VALU_DEP_3)
	v_dual_fmac_f32 v97, 0x3e9e377a, v85 :: v_dual_sub_f32 v72, v67, v64
	v_fmac_f32_e32 v80, 0x3f167918, v69
	s_delay_alu instid0(VALU_DEP_3) | instskip(SKIP_1) | instid1(VALU_DEP_4)
	v_fmac_f32_e32 v79, 0xbf167918, v69
	v_add_f32_e32 v69, v43, v64
	v_add_f32_e32 v68, v68, v72
	;; [unrolled: 1-line block ×3, first 2 shown]
	v_fmac_f32_e32 v80, 0x3e9e377a, v76
	v_fmac_f32_e32 v79, 0x3e9e377a, v76
	v_fma_f32 v69, -0.5, v69, v5
	s_delay_alu instid0(VALU_DEP_4) | instskip(NEXT) | instid1(VALU_DEP_2)
	v_add_f32_e32 v72, v72, v43
	v_fmamk_f32 v76, v74, 0xbf737871, v69
	v_fmac_f32_e32 v70, 0x3f167918, v71
	v_fmac_f32_e32 v81, 0x3e9e377a, v85
	v_sub_f32_e32 v85, v61, v65
	v_fmac_f32_e32 v69, 0x3f737871, v74
	s_delay_alu instid0(VALU_DEP_4) | instskip(NEXT) | instid1(VALU_DEP_3)
	v_fmac_f32_e32 v70, 0x3e9e377a, v17
	v_fmac_f32_e32 v76, 0xbf167918, v85
	s_delay_alu instid0(VALU_DEP_1) | instskip(NEXT) | instid1(VALU_DEP_4)
	v_fmac_f32_e32 v76, 0x3e9e377a, v68
	v_fmac_f32_e32 v69, 0x3f167918, v85
	s_delay_alu instid0(VALU_DEP_1) | instskip(SKIP_1) | instid1(VALU_DEP_2)
	v_dual_fmac_f32 v69, 0x3e9e377a, v68 :: v_dual_add_f32 v68, v18, v42
	v_fmac_f32_e32 v75, 0xbf167918, v71
	v_dual_add_f32 v71, v62, v67 :: v_dual_add_f32 v68, v68, v61
	s_delay_alu instid0(VALU_DEP_2) | instskip(SKIP_1) | instid1(VALU_DEP_3)
	v_fmac_f32_e32 v75, 0x3e9e377a, v17
	v_dual_add_f32 v17, v72, v64 :: v_dual_sub_f32 v72, v66, v65
	v_fmac_f32_e32 v5, -0.5, v71
	v_dual_sub_f32 v71, v43, v62 :: v_dual_sub_f32 v62, v62, v67
	s_delay_alu instid0(VALU_DEP_3) | instskip(SKIP_1) | instid1(VALU_DEP_4)
	v_add_f32_e32 v17, v17, v67
	v_add_f32_e32 v67, v61, v65
	v_fmamk_f32 v96, v85, 0x3f737871, v5
	v_fmac_f32_e32 v5, 0xbf737871, v85
	s_delay_alu instid0(VALU_DEP_3) | instskip(NEXT) | instid1(VALU_DEP_3)
	v_fma_f32 v85, -0.5, v67, v18
	v_fmac_f32_e32 v96, 0xbf167918, v74
	s_delay_alu instid0(VALU_DEP_3) | instskip(SKIP_1) | instid1(VALU_DEP_1)
	v_fmac_f32_e32 v5, 0x3f167918, v74
	v_add_f32_e32 v74, v42, v66
	v_fmac_f32_e32 v18, -0.5, v74
	v_sub_f32_e32 v74, v35, v38
	v_sub_f32_e32 v43, v43, v64
	v_dual_add_f32 v67, v68, v65 :: v_dual_fmamk_f32 v68, v62, 0x3f737871, v85
	v_add_f32_e32 v71, v71, v90
	v_fmac_f32_e32 v85, 0xbf737871, v62
	s_delay_alu instid0(VALU_DEP_3) | instskip(NEXT) | instid1(VALU_DEP_3)
	v_fmac_f32_e32 v68, 0x3f167918, v43
	v_fmac_f32_e32 v96, 0x3e9e377a, v71
	;; [unrolled: 1-line block ×3, first 2 shown]
	v_dual_sub_f32 v71, v42, v61 :: v_dual_sub_f32 v42, v61, v42
	v_sub_f32_e32 v61, v65, v66
	v_fmac_f32_e32 v85, 0xbf167918, v43
	v_fmamk_f32 v65, v43, 0xbf737871, v18
	s_delay_alu instid0(VALU_DEP_4) | instskip(SKIP_2) | instid1(VALU_DEP_4)
	v_add_f32_e32 v64, v71, v72
	v_dual_add_f32 v71, v67, v66 :: v_dual_add_f32 v66, v36, v39
	v_fmac_f32_e32 v18, 0x3f737871, v43
	v_fmac_f32_e32 v65, 0x3f167918, v62
	s_delay_alu instid0(VALU_DEP_4) | instskip(NEXT) | instid1(VALU_DEP_4)
	v_fmac_f32_e32 v68, 0x3e9e377a, v64
	v_fma_f32 v43, -0.5, v66, v8
	v_sub_f32_e32 v66, v41, v39
	v_fmac_f32_e32 v18, 0xbf167918, v62
	v_fmac_f32_e32 v85, 0x3e9e377a, v64
	v_sub_f32_e32 v64, v37, v36
	s_delay_alu instid0(VALU_DEP_1) | instskip(SKIP_1) | instid1(VALU_DEP_2)
	v_dual_add_f32 v62, v64, v66 :: v_dual_add_f32 v67, v37, v41
	v_sub_f32_e32 v66, v36, v37
	v_fma_f32 v64, -0.5, v67, v8
	v_sub_f32_e32 v67, v39, v41
	v_add_f32_e32 v8, v8, v37
	s_delay_alu instid0(VALU_DEP_3) | instskip(SKIP_1) | instid1(VALU_DEP_4)
	v_dual_sub_f32 v37, v37, v41 :: v_dual_fmamk_f32 v90, v74, 0x3f737871, v64
	v_fmac_f32_e32 v64, 0xbf737871, v74
	v_add_f32_e32 v66, v66, v67
	v_add_f32_e32 v42, v42, v61
	v_sub_f32_e32 v61, v34, v40
	v_add_f32_e32 v8, v8, v36
	v_sub_f32_e32 v36, v36, v39
	s_delay_alu instid0(VALU_DEP_4) | instskip(NEXT) | instid1(VALU_DEP_4)
	v_fmac_f32_e32 v18, 0x3e9e377a, v42
	v_fmamk_f32 v72, v61, 0xbf737871, v43
	s_delay_alu instid0(VALU_DEP_4)
	v_dual_fmac_f32 v43, 0x3f737871, v61 :: v_dual_add_f32 v8, v8, v39
	v_fmac_f32_e32 v64, 0x3f167918, v61
	v_fmac_f32_e32 v65, 0x3e9e377a, v42
	v_add_f32_e32 v42, v15, v34
	v_fmac_f32_e32 v72, 0xbf167918, v74
	v_dual_fmac_f32 v43, 0x3f167918, v74 :: v_dual_add_f32 v8, v8, v41
	v_fmac_f32_e32 v90, 0xbf167918, v61
	s_delay_alu instid0(VALU_DEP_4)
	v_dual_fmac_f32 v64, 0x3e9e377a, v66 :: v_dual_add_f32 v41, v42, v35
	v_add_f32_e32 v61, v35, v38
	v_fmac_f32_e32 v72, 0x3e9e377a, v62
	v_fmac_f32_e32 v43, 0x3e9e377a, v62
	;; [unrolled: 1-line block ×3, first 2 shown]
	v_sub_f32_e32 v62, v40, v38
	v_fma_f32 v66, -0.5, v61, v15
	v_add_f32_e32 v39, v41, v38
	v_add_f32_e32 v41, v34, v40
	v_dual_sub_f32 v42, v34, v35 :: v_dual_sub_f32 v61, v11, v13
	s_delay_alu instid0(VALU_DEP_4) | instskip(SKIP_1) | instid1(VALU_DEP_4)
	v_fmamk_f32 v74, v37, 0x3f737871, v66
	v_fmac_f32_e32 v66, 0xbf737871, v37
	v_fma_f32 v41, -0.5, v41, v15
	v_dual_sub_f32 v15, v35, v34 :: v_dual_sub_f32 v34, v38, v40
	v_dual_sub_f32 v35, v13, v11 :: v_dual_add_f32 v42, v42, v62
	s_delay_alu instid0(VALU_DEP_3) | instskip(SKIP_3) | instid1(VALU_DEP_4)
	v_dual_add_f32 v39, v39, v40 :: v_dual_fmamk_f32 v38, v36, 0xbf737871, v41
	v_dual_fmac_f32 v41, 0x3f737871, v36 :: v_dual_sub_f32 v40, v10, v19
	v_fmac_f32_e32 v74, 0x3f167918, v36
	v_dual_fmac_f32 v66, 0xbf167918, v36 :: v_dual_add_f32 v15, v15, v34
	v_fmac_f32_e32 v38, 0x3f167918, v37
	s_delay_alu instid0(VALU_DEP_4) | instskip(SKIP_3) | instid1(VALU_DEP_4)
	v_dual_add_f32 v34, v11, v32 :: v_dual_fmac_f32 v41, 0xbf167918, v37
	v_sub_f32_e32 v36, v33, v32
	v_dual_add_f32 v37, v13, v33 :: v_dual_fmac_f32 v74, 0x3e9e377a, v42
	v_fmac_f32_e32 v66, 0x3e9e377a, v42
	v_fma_f32 v34, -0.5, v34, v9
	s_delay_alu instid0(VALU_DEP_4) | instskip(NEXT) | instid1(VALU_DEP_4)
	v_dual_add_f32 v35, v35, v36 :: v_dual_add_f32 v36, v9, v13
	v_fmac_f32_e32 v9, -0.5, v37
	v_sub_f32_e32 v37, v12, v14
	s_delay_alu instid0(VALU_DEP_4)
	v_fmamk_f32 v42, v40, 0xbf737871, v34
	v_fmac_f32_e32 v34, 0x3f737871, v40
	v_fmac_f32_e32 v41, 0x3e9e377a, v15
	v_sub_f32_e32 v13, v13, v33
	v_fmamk_f32 v67, v37, 0x3f737871, v9
	v_fmac_f32_e32 v9, 0xbf737871, v37
	s_delay_alu instid0(VALU_DEP_2) | instskip(NEXT) | instid1(VALU_DEP_2)
	v_dual_sub_f32 v62, v32, v33 :: v_dual_fmac_f32 v67, 0xbf167918, v40
	v_fmac_f32_e32 v9, 0x3f167918, v40
	v_fmac_f32_e32 v42, 0xbf167918, v37
	v_add_f32_e32 v36, v36, v11
	s_delay_alu instid0(VALU_DEP_4) | instskip(SKIP_1) | instid1(VALU_DEP_4)
	v_dual_fmac_f32 v34, 0x3f167918, v37 :: v_dual_add_f32 v37, v61, v62
	v_fmac_f32_e32 v38, 0x3e9e377a, v15
	v_fmac_f32_e32 v42, 0x3e9e377a, v35
	v_add_f32_e32 v40, v16, v10
	v_lshl_add_u32 v61, v0, 2, 0
	v_fmac_f32_e32 v67, 0x3e9e377a, v37
	v_dual_add_f32 v15, v36, v32 :: v_dual_fmac_f32 v34, 0x3e9e377a, v35
	v_add_f32_e32 v35, v12, v14
	v_dual_fmac_f32 v9, 0x3e9e377a, v37 :: v_dual_sub_f32 v36, v19, v14
	s_delay_alu instid0(VALU_DEP_3) | instskip(NEXT) | instid1(VALU_DEP_3)
	v_add_f32_e32 v15, v15, v33
	v_fma_f32 v37, -0.5, v35, v16
	v_sub_f32_e32 v33, v10, v12
	v_add_f32_e32 v35, v10, v19
	v_dual_sub_f32 v11, v11, v32 :: v_dual_sub_f32 v10, v12, v10
	s_delay_alu instid0(VALU_DEP_3) | instskip(SKIP_1) | instid1(VALU_DEP_4)
	v_add_f32_e32 v32, v33, v36
	v_fmamk_f32 v36, v13, 0x3f737871, v37
	v_dual_fmac_f32 v37, 0xbf737871, v13 :: v_dual_fmac_f32 v16, -0.5, v35
	s_delay_alu instid0(VALU_DEP_2) | instskip(NEXT) | instid1(VALU_DEP_2)
	v_dual_add_f32 v33, v40, v12 :: v_dual_fmac_f32 v36, 0x3f167918, v11
	v_fmac_f32_e32 v37, 0xbf167918, v11
	v_sub_f32_e32 v12, v14, v19
	s_delay_alu instid0(VALU_DEP_3)
	v_add_f32_e32 v14, v33, v14
	v_fmamk_f32 v40, v11, 0xbf737871, v16
	v_dual_fmac_f32 v16, 0x3f737871, v11 :: v_dual_lshlrev_b32 v11, 2, v21
	v_fmac_f32_e32 v37, 0x3e9e377a, v32
	v_add_f32_e32 v10, v10, v12
	v_mul_u32_u24_e32 v12, 0xc8, v20
	s_delay_alu instid0(VALU_DEP_4) | instskip(SKIP_1) | instid1(VALU_DEP_3)
	v_fmac_f32_e32 v16, 0xbf167918, v13
	v_fmac_f32_e32 v36, 0x3e9e377a, v32
	v_add3_u32 v93, 0, v12, v11
	v_lshlrev_b32_e32 v11, 2, v27
	v_dual_add_f32 v99, v14, v19 :: v_dual_fmac_f32 v40, 0x3f167918, v13
	v_fmac_f32_e32 v16, 0x3e9e377a, v10
	v_mul_u32_u24_e32 v13, 0xc8, v25
	v_lshlrev_b32_e32 v12, 2, v30
	ds_store_2addr_b32 v93, v22, v95 offset1:10
	v_fmac_f32_e32 v40, 0x3e9e377a, v10
	v_lshlrev_b32_e32 v10, 2, v26
	v_lshlrev_b32_e32 v14, 2, v31
	s_delay_alu instid0(VALU_DEP_2)
	v_add3_u32 v100, 0, v13, v10
	v_mul_u32_u24_e32 v10, 0xc8, v24
	ds_store_2addr_b32 v93, v98, v7 offset0:20 offset1:30
	ds_store_b32 v93, v6 offset:160
	ds_store_2addr_b32 v100, v4, v94 offset1:10
	v_mul_u32_u24_e32 v4, 0xc8, v28
	v_mul_u32_u24_e32 v6, 0xc8, v29
	v_add3_u32 v94, 0, v10, v11
	ds_store_b32 v100, v77 offset:160
	ds_store_2addr_b32 v100, v97, v81 offset0:20 offset1:30
	v_add3_u32 v77, 0, v4, v12
	ds_store_2addr_b32 v94, v17, v76 offset1:10
	ds_store_2addr_b32 v94, v96, v5 offset0:20 offset1:30
	v_add3_u32 v76, 0, v6, v14
	ds_store_b32 v94, v69 offset:160
	ds_store_2addr_b32 v77, v8, v72 offset1:10
	ds_store_2addr_b32 v77, v90, v64 offset0:20 offset1:30
	ds_store_b32 v77, v43 offset:160
	ds_store_2addr_b32 v76, v15, v42 offset1:10
	ds_store_2addr_b32 v76, v67, v9 offset0:20 offset1:30
	ds_store_b32 v76, v34 offset:160
	global_wb scope:SCOPE_SE
	s_wait_dscnt 0x0
	s_barrier_signal -1
	s_barrier_wait -1
	global_inv scope:SCOPE_SE
	ds_load_2addr_b32 v[10:11], v1 offset1:135
	ds_load_2addr_b32 v[34:35], v48 offset0:70 offset1:205
	ds_load_2addr_b32 v[32:33], v44 offset0:12 offset1:147
	v_add_nc_u32_e32 v62, 0xe00, v61
	ds_load_2addr_b32 v[8:9], v47 offset0:14 offset1:149
	ds_load_2addr_b32 v[30:31], v45 offset0:84 offset1:219
	;; [unrolled: 1-line block ×11, first 2 shown]
	ds_load_b32 v67, v1 offset:3240
	ds_load_b32 v17, v61 offset:4860
	global_wb scope:SCOPE_SE
	s_wait_dscnt 0x0
	s_barrier_signal -1
	s_barrier_wait -1
	global_inv scope:SCOPE_SE
	ds_store_2addr_b32 v92, v89, v86 offset1:10
	ds_store_2addr_b32 v92, v84, v91 offset0:20 offset1:30
	ds_store_b32 v92, v87 offset:160
	ds_store_2addr_b32 v93, v78, v88 offset1:10
	ds_store_2addr_b32 v93, v82, v23 offset0:20 offset1:30
	ds_store_b32 v93, v83 offset:160
	ds_store_2addr_b32 v100, v73, v80 offset1:10
	v_mul_lo_u16 v23, v63, 41
	v_lshrrev_b16 v42, 1, v59
	ds_store_2addr_b32 v100, v70, v75 offset0:20 offset1:30
	ds_store_b32 v100, v79 offset:160
	ds_store_2addr_b32 v94, v71, v68 offset1:10
	ds_store_2addr_b32 v94, v65, v18 offset0:20 offset1:30
	ds_store_b32 v94, v85 offset:160
	v_lshrrev_b16 v23, 11, v23
	v_and_b32_e32 v18, 0xffff, v42
	ds_store_2addr_b32 v77, v39, v74 offset1:10
	ds_store_2addr_b32 v77, v38, v41 offset0:20 offset1:30
	ds_store_b32 v77, v66 offset:160
	ds_store_2addr_b32 v76, v99, v36 offset1:10
	v_mul_lo_u16 v39, v23, 50
	v_mul_u32_u24_e32 v18, 0x147b, v18
	ds_store_2addr_b32 v76, v40, v16 offset0:20 offset1:30
	ds_store_b32 v76, v37 offset:160
	global_wb scope:SCOPE_SE
	s_wait_dscnt 0x0
	v_sub_nc_u16 v36, v0, v39
	v_lshrrev_b32_e32 v16, 17, v18
	s_barrier_signal -1
	s_barrier_wait -1
	global_inv scope:SCOPE_SE
	v_and_b32_e32 v70, 0xff, v36
	v_mul_lo_u16 v36, v16, 50
	v_lshrrev_b16 v38, 1, v60
	v_lshrrev_b16 v18, 1, v56
	;; [unrolled: 1-line block ×3, first 2 shown]
	v_lshlrev_b32_e32 v37, 4, v70
	v_sub_nc_u16 v36, v59, v36
	v_mul_u32_u24_e32 v16, 0x258, v16
	global_load_b128 v[75:78], v37, s[4:5] offset:320
	v_and_b32_e32 v69, 0xffff, v36
	v_lshrrev_b16 v36, 1, v57
	s_delay_alu instid0(VALU_DEP_2) | instskip(SKIP_4) | instid1(VALU_DEP_3)
	v_lshlrev_b32_e32 v41, 4, v69
	global_load_b128 v[79:82], v41, s[4:5] offset:320
	v_and_b32_e32 v39, 0xffff, v38
	v_and_b32_e32 v38, 0xffff, v18
	;; [unrolled: 1-line block ×3, first 2 shown]
	v_mul_u32_u24_e32 v18, 0x147b, v39
	s_delay_alu instid0(VALU_DEP_3) | instskip(NEXT) | instid1(VALU_DEP_2)
	v_mul_u32_u24_e32 v40, 0x147b, v38
	v_lshrrev_b32_e32 v18, 17, v18
	s_delay_alu instid0(VALU_DEP_2) | instskip(NEXT) | instid1(VALU_DEP_2)
	v_lshrrev_b32_e32 v68, 17, v40
	v_mul_lo_u16 v40, v18, 50
	s_delay_alu instid0(VALU_DEP_2) | instskip(NEXT) | instid1(VALU_DEP_2)
	v_mul_lo_u16 v42, v68, 50
	v_sub_nc_u16 v40, v60, v40
	s_delay_alu instid0(VALU_DEP_2) | instskip(NEXT) | instid1(VALU_DEP_2)
	v_sub_nc_u16 v42, v56, v42
	v_and_b32_e32 v73, 0xffff, v40
	s_delay_alu instid0(VALU_DEP_2) | instskip(SKIP_1) | instid1(VALU_DEP_3)
	v_and_b32_e32 v72, 0xffff, v42
	v_mul_u32_u24_e32 v40, 0x147b, v37
	v_lshlrev_b32_e32 v41, 4, v73
	s_delay_alu instid0(VALU_DEP_3) | instskip(NEXT) | instid1(VALU_DEP_3)
	v_lshlrev_b32_e32 v43, 4, v72
	v_lshrrev_b32_e32 v74, 17, v40
	s_clause 0x1
	global_load_b128 v[83:86], v41, s[4:5] offset:320
	global_load_b128 v[94:97], v43, s[4:5] offset:320
	v_and_b32_e32 v36, 0xffff, v36
	s_delay_alu instid0(VALU_DEP_1) | instskip(NEXT) | instid1(VALU_DEP_1)
	v_mul_u32_u24_e32 v63, 0x147b, v36
	v_lshrrev_b32_e32 v71, 17, v63
	v_add_nc_u32_e32 v63, 0x32a, v0
	s_delay_alu instid0(VALU_DEP_2) | instskip(NEXT) | instid1(VALU_DEP_2)
	v_mul_lo_u16 v42, v71, 50
	v_lshrrev_b16 v65, 1, v63
	s_delay_alu instid0(VALU_DEP_2) | instskip(NEXT) | instid1(VALU_DEP_2)
	v_sub_nc_u16 v41, v57, v42
	v_and_b32_e32 v40, 0xffff, v65
	v_add_nc_u32_e32 v65, 0x438, v0
	v_mul_lo_u16 v42, v74, 50
	s_delay_alu instid0(VALU_DEP_4) | instskip(NEXT) | instid1(VALU_DEP_4)
	v_and_b32_e32 v90, 0xffff, v41
	v_mul_u32_u24_e32 v66, 0x147b, v40
	s_delay_alu instid0(VALU_DEP_3) | instskip(NEXT) | instid1(VALU_DEP_3)
	v_sub_nc_u16 v42, v58, v42
	v_lshlrev_b32_e32 v87, 4, v90
	s_delay_alu instid0(VALU_DEP_3) | instskip(NEXT) | instid1(VALU_DEP_3)
	v_lshrrev_b32_e32 v105, 17, v66
	v_and_b32_e32 v134, 0xffff, v42
	global_load_b128 v[108:111], v87, s[4:5] offset:320
	v_add_nc_u32_e32 v64, 0x3b1, v0
	v_mul_lo_u16 v88, v105, 50
	s_delay_alu instid0(VALU_DEP_2) | instskip(NEXT) | instid1(VALU_DEP_2)
	v_lshrrev_b16 v43, 1, v64
	v_sub_nc_u16 v88, v63, v88
	s_delay_alu instid0(VALU_DEP_2) | instskip(SKIP_1) | instid1(VALU_DEP_3)
	v_and_b32_e32 v41, 0xffff, v43
	v_lshrrev_b16 v43, 1, v65
	v_and_b32_e32 v136, 0xffff, v88
	s_delay_alu instid0(VALU_DEP_3) | instskip(NEXT) | instid1(VALU_DEP_3)
	v_mul_u32_u24_e32 v42, 0x147b, v41
	v_and_b32_e32 v43, 0xffff, v43
	s_delay_alu instid0(VALU_DEP_2) | instskip(NEXT) | instid1(VALU_DEP_2)
	v_lshrrev_b32_e32 v135, 17, v42
	v_mul_u32_u24_e32 v89, 0x147b, v43
	s_delay_alu instid0(VALU_DEP_2) | instskip(NEXT) | instid1(VALU_DEP_2)
	v_mul_lo_u16 v91, v135, 50
	v_lshrrev_b32_e32 v137, 17, v89
	v_lshlrev_b32_e32 v89, 4, v136
	global_load_b128 v[116:119], v89, s[4:5] offset:320
	v_add_nc_u32_e32 v66, 0x4bf, v0
	v_lshlrev_b32_e32 v87, 4, v134
	s_delay_alu instid0(VALU_DEP_2) | instskip(SKIP_4) | instid1(VALU_DEP_3)
	v_lshrrev_b16 v42, 1, v66
	global_load_b128 v[112:115], v87, s[4:5] offset:320
	v_sub_nc_u16 v87, v64, v91
	v_mul_lo_u16 v91, v137, 50
	v_and_b32_e32 v42, 0xffff, v42
	v_and_b32_e32 v138, 0xffff, v87
	s_delay_alu instid0(VALU_DEP_3) | instskip(NEXT) | instid1(VALU_DEP_3)
	v_sub_nc_u16 v87, v65, v91
	v_mul_u32_u24_e32 v88, 0x147b, v42
	s_delay_alu instid0(VALU_DEP_1) | instskip(NEXT) | instid1(VALU_DEP_4)
	v_lshrrev_b32_e32 v139, 17, v88
	v_lshlrev_b32_e32 v88, 4, v138
	s_delay_alu instid0(VALU_DEP_2) | instskip(SKIP_3) | instid1(VALU_DEP_1)
	v_mul_lo_u16 v89, v139, 50
	global_load_b128 v[120:123], v88, s[4:5] offset:320
	v_and_b32_e32 v140, 0xffff, v87
	v_sub_nc_u16 v87, v66, v89
	v_and_b32_e32 v141, 0xffff, v87
	s_delay_alu instid0(VALU_DEP_1)
	v_lshlrev_b32_e32 v87, 4, v141
	global_load_b128 v[128:131], v87, s[4:5] offset:320
	v_lshlrev_b32_e32 v88, 4, v140
	global_load_b128 v[124:127], v88, s[4:5] offset:320
	ds_load_2addr_b32 v[87:88], v48 offset0:70 offset1:205
	ds_load_2addr_b32 v[91:92], v44 offset0:12 offset1:147
	;; [unrolled: 1-line block ×4, first 2 shown]
	s_wait_loadcnt_dscnt 0x903
	v_mul_f32_e32 v142, v87, v76
	s_wait_dscnt 0x2
	v_dual_mul_f32 v76, v34, v76 :: v_dual_mul_f32 v143, v91, v78
	v_mul_f32_e32 v78, v32, v78
	v_mul_u32_u24_e32 v39, 0xda75, v39
	v_fmac_f32_e32 v142, v34, v75
	s_delay_alu instid0(VALU_DEP_4)
	v_fma_f32 v144, v87, v75, -v76
	v_fmac_f32_e32 v143, v32, v77
	v_fma_f32 v145, v91, v77, -v78
	v_lshrrev_b32_e32 v39, 22, v39
	v_mul_u32_u24_e32 v37, 0xda75, v37
	s_wait_loadcnt 0x8
	v_mul_f32_e32 v100, v88, v80
	v_mul_f32_e32 v34, v35, v80
	;; [unrolled: 1-line block ×3, first 2 shown]
	s_delay_alu instid0(VALU_DEP_3) | instskip(NEXT) | instid1(VALU_DEP_3)
	v_dual_mul_f32 v75, v33, v82 :: v_dual_fmac_f32 v100, v35, v79
	v_fma_f32 v146, v88, v79, -v34
	ds_load_2addr_b32 v[34:35], v50 offset0:98 offset1:233
	v_fmac_f32_e32 v106, v33, v81
	ds_load_2addr_b32 v[32:33], v46 offset0:40 offset1:175
	v_fma_f32 v147, v92, v81, -v75
	s_wait_loadcnt_dscnt 0x703
	v_mul_f32_e32 v98, v101, v84
	s_wait_dscnt 0x2
	v_dual_mul_f32 v76, v30, v84 :: v_dual_mul_f32 v103, v132, v86
	s_wait_loadcnt 0x6
	v_mul_f32_e32 v75, v29, v97
	v_mul_f32_e32 v93, v102, v95
	v_fmac_f32_e32 v98, v30, v83
	v_mul_f32_e32 v30, v28, v86
	v_fma_f32 v107, v101, v83, -v76
	v_dual_fmac_f32 v103, v28, v85 :: v_dual_mul_f32 v28, v31, v95
	v_mul_f32_e32 v95, v133, v97
	s_delay_alu instid0(VALU_DEP_4)
	v_fma_f32 v101, v132, v85, -v30
	v_fma_f32 v104, v133, v96, -v75
	v_fmac_f32_e32 v93, v31, v94
	ds_load_2addr_b32 v[30:31], v51 offset0:54 offset1:189
	v_fmac_f32_e32 v95, v29, v96
	v_mul_u32_u24_e32 v36, 0xda75, v36
	v_mul_u32_u24_e32 v38, 0xda75, v38
	;; [unrolled: 1-line block ×3, first 2 shown]
	s_delay_alu instid0(VALU_DEP_2) | instskip(SKIP_3) | instid1(VALU_DEP_2)
	v_lshrrev_b32_e32 v38, 22, v38
	s_wait_loadcnt_dscnt 0x502
	v_mul_f32_e32 v84, v34, v109
	v_dual_mul_f32 v76, v26, v109 :: v_dual_mul_f32 v75, v24, v111
	v_fmac_f32_e32 v84, v26, v108
	s_delay_alu instid0(VALU_DEP_2) | instskip(SKIP_1) | instid1(VALU_DEP_3)
	v_fma_f32 v99, v34, v108, -v76
	s_wait_dscnt 0x1
	v_fma_f32 v96, v32, v110, -v75
	s_wait_loadcnt_dscnt 0x400
	v_dual_mul_f32 v91, v30, v119 :: v_dual_mul_f32 v34, v21, v117
	s_delay_alu instid0(VALU_DEP_1) | instskip(SKIP_4) | instid1(VALU_DEP_3)
	v_fmac_f32_e32 v91, v19, v118
	s_wait_loadcnt 0x3
	v_mul_f32_e32 v78, v35, v113
	v_mul_f32_e32 v26, v27, v113
	;; [unrolled: 1-line block ×3, first 2 shown]
	v_fmac_f32_e32 v78, v27, v112
	s_delay_alu instid0(VALU_DEP_3) | instskip(SKIP_3) | instid1(VALU_DEP_1)
	v_fma_f32 v85, v35, v112, -v26
	ds_load_2addr_b32 v[26:27], v49 offset0:62 offset1:197
	s_wait_loadcnt 0x2
	v_dual_fmac_f32 v82, v25, v114 :: v_dual_mul_f32 v83, v31, v123
	v_fmac_f32_e32 v83, v20, v122
	s_wait_loadcnt_dscnt 0x100
	v_mul_f32_e32 v77, v27, v129
	s_delay_alu instid0(VALU_DEP_1) | instskip(SKIP_2) | instid1(VALU_DEP_1)
	v_fmac_f32_e32 v77, v15, v128
	s_wait_loadcnt 0x0
	v_mul_f32_e32 v75, v26, v125
	v_fmac_f32_e32 v75, v14, v124
	v_fma_f32 v102, v102, v94, -v28
	ds_load_2addr_b32 v[28:29], v54 offset0:112 offset1:247
	v_mul_f32_e32 v94, v32, v111
	v_mul_f32_e32 v32, v25, v115
	s_delay_alu instid0(VALU_DEP_2) | instskip(SKIP_3) | instid1(VALU_DEP_1)
	v_fmac_f32_e32 v94, v24, v110
	ds_load_2addr_b32 v[24:25], v55 offset0:68 offset1:203
	v_fma_f32 v87, v33, v114, -v32
	v_dual_mul_f32 v32, v19, v119 :: v_dual_mul_f32 v19, v22, v121
	v_fma_f32 v88, v30, v118, -v32
	s_wait_dscnt 0x1
	v_mul_f32_e32 v86, v28, v117
	s_delay_alu instid0(VALU_DEP_3)
	v_fma_f32 v92, v29, v120, -v19
	v_mul_f32_e32 v19, v14, v125
	v_mul_f32_e32 v14, v15, v129
	v_fma_f32 v97, v28, v116, -v34
	v_dual_fmac_f32 v86, v21, v116 :: v_dual_mul_f32 v21, v20, v123
	v_mul_f32_e32 v20, v12, v127
	s_wait_dscnt 0x0
	v_mul_f32_e32 v117, v25, v131
	v_mul_f32_e32 v76, v24, v127
	v_fma_f32 v80, v26, v124, -v19
	v_fma_f32 v116, v27, v128, -v14
	v_fma_f32 v81, v24, v126, -v20
	v_add_f32_e32 v20, v142, v143
	v_dual_mul_f32 v14, v13, v131 :: v_dual_add_f32 v19, v10, v142
	v_fmac_f32_e32 v117, v13, v130
	v_sub_f32_e32 v13, v144, v145
	s_delay_alu instid0(VALU_DEP_4)
	v_fma_f32 v10, -0.5, v20, v10
	v_fmac_f32_e32 v76, v12, v126
	v_lshlrev_b32_e32 v15, 2, v70
	v_fma_f32 v70, v25, v130, -v14
	v_mul_f32_e32 v79, v29, v121
	v_fmamk_f32 v14, v13, 0xbf5db3d7, v10
	v_dual_fmac_f32 v10, 0x3f5db3d7, v13 :: v_dual_add_f32 v13, v11, v100
	s_delay_alu instid0(VALU_DEP_3)
	v_dual_fmac_f32 v79, v22, v120 :: v_dual_and_b32 v12, 0xffff, v23
	ds_load_b32 v119, v1 offset:3240
	ds_load_b32 v120, v61 offset:4860
	ds_load_2addr_b32 v[108:109], v1 offset1:135
	ds_load_2addr_b32 v[110:111], v47 offset0:14 offset1:149
	ds_load_2addr_b32 v[112:113], v52 offset0:28 offset1:163
	;; [unrolled: 1-line block ×3, first 2 shown]
	global_wb scope:SCOPE_SE
	s_wait_dscnt 0x0
	s_barrier_signal -1
	v_mul_u32_u24_e32 v12, 0x258, v12
	s_barrier_wait -1
	global_inv scope:SCOPE_SE
	v_fma_f32 v89, v31, v122, -v21
	v_add3_u32 v118, 0, v12, v15
	v_dual_add_f32 v15, v100, v106 :: v_dual_add_f32 v12, v19, v143
	v_lshlrev_b32_e32 v19, 2, v69
	ds_store_2addr_b32 v118, v12, v14 offset1:50
	ds_store_b32 v118, v10 offset:400
	v_fmac_f32_e32 v11, -0.5, v15
	v_sub_f32_e32 v15, v146, v147
	v_add3_u32 v69, 0, v16, v19
	v_add_f32_e32 v10, v13, v106
	v_mul_u32_u24_e32 v13, 0x258, v18
	v_lshlrev_b32_e32 v14, 2, v73
	v_fmamk_f32 v12, v15, 0xbf5db3d7, v11
	v_fmac_f32_e32 v11, 0x3f5db3d7, v15
	v_add_f32_e32 v15, v8, v98
	ds_store_2addr_b32 v69, v10, v12 offset1:50
	ds_store_b32 v69, v11 offset:400
	v_dual_sub_f32 v11, v107, v101 :: v_dual_add_f32 v16, v98, v103
	v_add3_u32 v73, 0, v13, v14
	v_add_f32_e32 v10, v15, v103
	v_add_f32_e32 v12, v93, v95
	v_mul_u32_u24_e32 v13, 0x258, v68
	v_fma_f32 v8, -0.5, v16, v8
	v_dual_add_f32 v15, v9, v93 :: v_dual_lshlrev_b32 v14, 2, v72
	s_delay_alu instid0(VALU_DEP_4) | instskip(NEXT) | instid1(VALU_DEP_3)
	v_dual_fmac_f32 v9, -0.5, v12 :: v_dual_add_f32 v12, v84, v94
	v_fmamk_f32 v16, v11, 0xbf5db3d7, v8
	v_fmac_f32_e32 v8, 0x3f5db3d7, v11
	s_delay_alu instid0(VALU_DEP_4)
	v_add3_u32 v72, 0, v13, v14
	v_add_f32_e32 v11, v15, v95
	v_mul_u32_u24_e32 v14, 0x258, v71
	v_lshlrev_b32_e32 v15, 2, v90
	v_dual_sub_f32 v13, v102, v104 :: v_dual_sub_f32 v100, v100, v106
	v_sub_f32_e32 v98, v98, v103
	s_delay_alu instid0(VALU_DEP_3) | instskip(SKIP_4) | instid1(VALU_DEP_2)
	v_add3_u32 v71, 0, v14, v15
	v_dual_add_f32 v15, v4, v79 :: v_dual_add_f32 v18, v6, v84
	v_fma_f32 v6, -0.5, v12, v6
	v_dual_sub_f32 v12, v99, v96 :: v_dual_fmamk_f32 v19, v13, 0xbf5db3d7, v9
	v_fmac_f32_e32 v9, 0x3f5db3d7, v13
	v_dual_add_f32 v13, v18, v94 :: v_dual_fmamk_f32 v14, v12, 0xbf5db3d7, v6
	ds_store_2addr_b32 v73, v10, v16 offset1:50
	ds_store_b32 v73, v8 offset:400
	ds_store_2addr_b32 v72, v11, v19 offset1:50
	ds_store_b32 v72, v9 offset:400
	ds_store_2addr_b32 v71, v13, v14 offset1:50
	v_fmac_f32_e32 v6, 0x3f5db3d7, v12
	v_mul_u32_u24_e32 v9, 0x258, v74
	v_lshlrev_b32_e32 v10, 2, v134
	v_add_f32_e32 v11, v7, v78
	v_add_f32_e32 v8, v78, v82
	ds_store_b32 v71, v6 offset:400
	v_lshlrev_b32_e32 v12, 2, v136
	v_add3_u32 v6, 0, v9, v10
	v_dual_add_f32 v10, v86, v91 :: v_dual_add_f32 v9, v11, v82
	v_mul_u32_u24_e32 v11, 0x258, v105
	v_dual_fmac_f32 v7, -0.5, v8 :: v_dual_sub_f32 v8, v85, v87
	v_add_f32_e32 v13, v67, v86
	s_delay_alu instid0(VALU_DEP_4) | instskip(NEXT) | instid1(VALU_DEP_4)
	v_dual_fmac_f32 v67, -0.5, v10 :: v_dual_add_f32 v10, v79, v83
	v_add3_u32 v74, 0, v11, v12
	s_delay_alu instid0(VALU_DEP_4) | instskip(NEXT) | instid1(VALU_DEP_4)
	v_dual_sub_f32 v11, v97, v88 :: v_dual_fmamk_f32 v14, v8, 0xbf5db3d7, v7
	v_dual_fmac_f32 v7, 0x3f5db3d7, v8 :: v_dual_add_f32 v8, v13, v91
	v_mul_u32_u24_e32 v12, 0x258, v135
	v_lshlrev_b32_e32 v13, 2, v138
	v_fma_f32 v4, -0.5, v10, v4
	v_sub_f32_e32 v10, v92, v89
	v_fmamk_f32 v16, v11, 0xbf5db3d7, v67
	v_fmac_f32_e32 v67, 0x3f5db3d7, v11
	v_add3_u32 v90, 0, v12, v13
	s_delay_alu instid0(VALU_DEP_4)
	v_dual_add_f32 v11, v15, v83 :: v_dual_fmamk_f32 v12, v10, 0xbf5db3d7, v4
	ds_store_2addr_b32 v6, v9, v14 offset1:50
	ds_store_b32 v6, v7 offset:400
	ds_store_2addr_b32 v74, v8, v16 offset1:50
	ds_store_b32 v74, v67 offset:400
	ds_store_2addr_b32 v90, v11, v12 offset1:50
	v_add_f32_e32 v7, v75, v76
	v_mul_u32_u24_e32 v8, 0x258, v137
	v_dual_fmac_f32 v4, 0x3f5db3d7, v10 :: v_dual_lshlrev_b32 v9, 2, v140
	v_add_f32_e32 v10, v5, v75
	s_delay_alu instid0(VALU_DEP_4) | instskip(SKIP_1) | instid1(VALU_DEP_4)
	v_fmac_f32_e32 v5, -0.5, v7
	v_sub_f32_e32 v7, v80, v81
	v_add3_u32 v105, 0, v8, v9
	v_add_f32_e32 v8, v77, v117
	ds_store_b32 v90, v4 offset:400
	v_dual_add_f32 v4, v10, v76 :: v_dual_fmamk_f32 v9, v7, 0xbf5db3d7, v5
	v_add_f32_e32 v10, v17, v77
	v_mul_u32_u24_e32 v11, 0x258, v139
	v_dual_fmac_f32 v17, -0.5, v8 :: v_dual_lshlrev_b32 v12, 2, v141
	v_dual_sub_f32 v8, v116, v70 :: v_dual_fmac_f32 v5, 0x3f5db3d7, v7
	ds_store_2addr_b32 v105, v4, v9 offset1:50
	v_add3_u32 v121, 0, v11, v12
	v_dual_add_f32 v4, v10, v117 :: v_dual_fmamk_f32 v7, v8, 0xbf5db3d7, v17
	ds_store_b32 v105, v5 offset:400
	v_add_f32_e32 v5, v144, v145
	v_add_f32_e32 v9, v108, v144
	v_fmac_f32_e32 v17, 0x3f5db3d7, v8
	ds_store_2addr_b32 v121, v4, v7 offset1:50
	v_sub_f32_e32 v7, v142, v143
	v_fma_f32 v5, -0.5, v5, v108
	v_add_f32_e32 v108, v146, v147
	v_add_f32_e32 v4, v9, v145
	ds_store_b32 v121, v17 offset:400
	global_wb scope:SCOPE_SE
	s_wait_dscnt 0x0
	v_fmamk_f32 v122, v7, 0x3f5db3d7, v5
	v_fmac_f32_e32 v5, 0xbf5db3d7, v7
	v_add_f32_e32 v7, v109, v146
	v_fmac_f32_e32 v109, -0.5, v108
	s_barrier_signal -1
	s_barrier_wait -1
	global_inv scope:SCOPE_SE
	ds_load_b32 v68, v1 offset:3240
	ds_load_b32 v67, v61 offset:4860
	ds_load_2addr_b32 v[14:15], v1 offset1:135
	ds_load_2addr_b32 v[34:35], v48 offset0:70 offset1:205
	ds_load_2addr_b32 v[32:33], v44 offset0:12 offset1:147
	;; [unrolled: 1-line block ×13, first 2 shown]
	global_wb scope:SCOPE_SE
	s_wait_dscnt 0x0
	s_barrier_signal -1
	s_barrier_wait -1
	global_inv scope:SCOPE_SE
	ds_store_2addr_b32 v118, v4, v122 offset1:50
	ds_store_b32 v118, v5 offset:400
	v_add_f32_e32 v4, v7, v147
	v_add_f32_e32 v5, v107, v101
	v_fmamk_f32 v7, v100, 0x3f5db3d7, v109
	v_dual_fmac_f32 v109, 0xbf5db3d7, v100 :: v_dual_add_f32 v100, v110, v107
	ds_store_2addr_b32 v69, v4, v7 offset1:50
	ds_store_b32 v69, v109 offset:400
	v_fma_f32 v5, -0.5, v5, v110
	v_dual_add_f32 v4, v102, v104 :: v_dual_add_f32 v7, v100, v101
	v_sub_f32_e32 v79, v79, v83
	s_delay_alu instid0(VALU_DEP_3) | instskip(SKIP_1) | instid1(VALU_DEP_4)
	v_fmamk_f32 v69, v98, 0x3f5db3d7, v5
	v_fmac_f32_e32 v5, 0xbf5db3d7, v98
	v_dual_add_f32 v98, v111, v102 :: v_dual_fmac_f32 v111, -0.5, v4
	v_sub_f32_e32 v4, v93, v95
	ds_store_2addr_b32 v73, v7, v69 offset1:50
	ds_store_b32 v73, v5 offset:400
	v_add_f32_e32 v7, v99, v96
	v_add_f32_e32 v5, v98, v104
	v_sub_f32_e32 v73, v84, v94
	v_fmamk_f32 v69, v4, 0x3f5db3d7, v111
	v_fmac_f32_e32 v111, 0xbf5db3d7, v4
	v_fma_f32 v7, -0.5, v7, v112
	ds_store_2addr_b32 v72, v5, v69 offset1:50
	ds_store_b32 v72, v111 offset:400
	v_add_f32_e32 v5, v85, v87
	v_add_f32_e32 v72, v97, v88
	v_fmamk_f32 v69, v73, 0x3f5db3d7, v7
	v_fmac_f32_e32 v7, 0xbf5db3d7, v73
	v_add_f32_e32 v73, v113, v85
	v_fmac_f32_e32 v113, -0.5, v5
	v_dual_sub_f32 v5, v78, v82 :: v_dual_add_f32 v78, v119, v97
	v_dual_fmac_f32 v119, -0.5, v72 :: v_dual_sub_f32 v72, v86, v91
	v_add_f32_e32 v84, v92, v89
	v_add_f32_e32 v4, v112, v99
	s_delay_alu instid0(VALU_DEP_4)
	v_fmamk_f32 v82, v5, 0x3f5db3d7, v113
	v_fmac_f32_e32 v113, 0xbf5db3d7, v5
	v_add_f32_e32 v5, v114, v92
	v_fma_f32 v83, -0.5, v84, v114
	v_dual_add_f32 v4, v4, v96 :: v_dual_add_f32 v73, v73, v87
	v_fmamk_f32 v84, v72, 0x3f5db3d7, v119
	s_delay_alu instid0(VALU_DEP_4) | instskip(SKIP_4) | instid1(VALU_DEP_4)
	v_dual_fmac_f32 v119, 0xbf5db3d7, v72 :: v_dual_add_f32 v72, v5, v89
	v_dual_add_f32 v5, v80, v81 :: v_dual_add_f32 v78, v78, v88
	v_fmamk_f32 v85, v79, 0x3f5db3d7, v83
	v_fmac_f32_e32 v83, 0xbf5db3d7, v79
	v_dual_add_f32 v79, v116, v70 :: v_dual_add_f32 v80, v115, v80
	v_fmac_f32_e32 v115, -0.5, v5
	v_sub_f32_e32 v5, v75, v76
	ds_store_2addr_b32 v71, v4, v69 offset1:50
	ds_store_b32 v71, v7 offset:400
	ds_store_2addr_b32 v6, v73, v82 offset1:50
	ds_store_b32 v6, v113 offset:400
	v_add_nc_u32_e32 v69, -15, v0
	v_dual_add_f32 v75, v120, v116 :: v_dual_fmac_f32 v120, -0.5, v79
	v_sub_f32_e32 v76, v77, v117
	v_add_f32_e32 v77, v80, v81
	v_dual_fmamk_f32 v79, v5, 0x3f5db3d7, v115 :: v_dual_lshlrev_b32 v4, 1, v0
	v_fmac_f32_e32 v115, 0xbf5db3d7, v5
	v_mov_b32_e32 v5, 0
	ds_store_2addr_b32 v74, v78, v84 offset1:50
	ds_store_b32 v74, v119 offset:400
	ds_store_2addr_b32 v90, v72, v85 offset1:50
	ds_store_b32 v90, v83 offset:400
	s_wait_alu 0xf1ff
	v_cndmask_b32_e64 v69, v69, v59, s0
	v_mul_lo_u16 v72, 0x96, v39
	v_dual_add_f32 v70, v75, v70 :: v_dual_fmamk_f32 v75, v76, 0x3f5db3d7, v120
	v_fmac_f32_e32 v120, 0xbf5db3d7, v76
	ds_store_2addr_b32 v105, v77, v79 offset1:50
	ds_store_b32 v105, v115 offset:400
	ds_store_2addr_b32 v121, v70, v75 offset1:50
	ds_store_b32 v121, v120 offset:400
	v_lshlrev_b32_e32 v70, 1, v69
	v_sub_nc_u16 v72, v60, v72
	v_mov_b32_e32 v71, v5
	v_lshlrev_b64_e32 v[6:7], 3, v[4:5]
	global_wb scope:SCOPE_SE
	s_wait_dscnt 0x0
	s_barrier_signal -1
	v_and_b32_e32 v72, 0xffff, v72
	v_lshlrev_b64_e32 v[70:71], 3, v[70:71]
	s_barrier_wait -1
	v_add_co_u32 v6, s0, s4, v6
	s_wait_alu 0xf1ff
	v_add_co_ci_u32_e64 v7, s0, s5, v7, s0
	s_delay_alu instid0(VALU_DEP_3)
	v_add_co_u32 v70, s0, s4, v70
	s_wait_alu 0xf1ff
	v_add_co_ci_u32_e64 v71, s0, s5, v71, s0
	global_inv scope:SCOPE_SE
	global_load_b128 v[76:79], v[6:7], off offset:1120
	v_mul_lo_u16 v73, 0x96, v38
	global_load_b128 v[85:88], v[70:71], off offset:1120
	v_lshrrev_b32_e32 v71, 22, v36
	v_lshrrev_b32_e32 v70, 22, v37
	v_lshlrev_b32_e32 v36, 4, v72
	v_sub_nc_u16 v73, v56, v73
	v_cmp_lt_u32_e64 s0, 14, v0
	v_mul_lo_u16 v37, 0x96, v71
	global_load_b128 v[98:101], v36, s[4:5] offset:1120
	v_and_b32_e32 v74, 0xffff, v73
	v_sub_nc_u16 v37, v57, v37
	s_delay_alu instid0(VALU_DEP_2) | instskip(NEXT) | instid1(VALU_DEP_2)
	v_lshlrev_b32_e32 v73, 4, v74
	v_and_b32_e32 v80, 0xffff, v37
	global_load_b128 v[107:110], v73, s[4:5] offset:1120
	v_lshlrev_b32_e32 v37, 4, v80
	global_load_b128 v[112:115], v37, s[4:5] offset:1120
	v_mul_lo_u16 v36, 0x96, v70
	s_delay_alu instid0(VALU_DEP_1) | instskip(NEXT) | instid1(VALU_DEP_1)
	v_sub_nc_u16 v36, v58, v36
	v_and_b32_e32 v75, 0xffff, v36
	v_mul_u32_u24_e32 v36, 0xda75, v41
	s_delay_alu instid0(VALU_DEP_2) | instskip(NEXT) | instid1(VALU_DEP_2)
	v_lshlrev_b32_e32 v41, 4, v75
	v_lshrrev_b32_e32 v94, 22, v36
	global_load_b128 v[116:119], v41, s[4:5] offset:1120
	v_lshrrev_b32_e32 v73, 22, v40
	v_mul_lo_u16 v37, 0x96, v94
	s_delay_alu instid0(VALU_DEP_2) | instskip(NEXT) | instid1(VALU_DEP_1)
	v_mul_lo_u16 v40, 0x96, v73
	v_sub_nc_u16 v36, v63, v40
	v_mul_u32_u24_e32 v40, 0xda75, v43
	s_delay_alu instid0(VALU_DEP_2) | instskip(NEXT) | instid1(VALU_DEP_2)
	v_and_b32_e32 v132, 0xffff, v36
	v_lshrrev_b32_e32 v133, 22, v40
	v_sub_nc_u16 v36, v64, v37
	v_mul_u32_u24_e32 v37, 0xda75, v42
	s_delay_alu instid0(VALU_DEP_4) | instskip(NEXT) | instid1(VALU_DEP_3)
	v_lshlrev_b32_e32 v40, 4, v132
	v_and_b32_e32 v134, 0xffff, v36
	s_delay_alu instid0(VALU_DEP_3)
	v_lshrrev_b32_e32 v36, 22, v37
	v_mul_lo_u16 v37, 0x96, v133
	global_load_b128 v[40:43], v40, s[4:5] offset:1120
	v_lshlrev_b32_e32 v81, 4, v134
	v_mul_lo_u16 v36, 0x96, v36
	v_sub_nc_u16 v37, v65, v37
	global_load_b128 v[120:123], v81, s[4:5] offset:1120
	v_sub_nc_u16 v36, v66, v36
	v_and_b32_e32 v135, 0xffff, v37
	s_delay_alu instid0(VALU_DEP_2) | instskip(NEXT) | instid1(VALU_DEP_2)
	v_and_b32_e32 v136, 0xffff, v36
	v_lshlrev_b32_e32 v36, 4, v135
	s_delay_alu instid0(VALU_DEP_2)
	v_lshlrev_b32_e32 v37, 4, v136
	s_clause 0x1
	global_load_b128 v[124:127], v36, s[4:5] offset:1120
	global_load_b128 v[128:131], v37, s[4:5] offset:1120
	ds_load_2addr_b32 v[36:37], v48 offset0:70 offset1:205
	ds_load_2addr_b32 v[81:82], v44 offset0:12 offset1:147
	;; [unrolled: 1-line block ×4, first 2 shown]
	s_wait_loadcnt_dscnt 0x903
	v_mul_f32_e32 v137, v36, v77
	s_wait_dscnt 0x2
	v_dual_mul_f32 v77, v34, v77 :: v_dual_mul_f32 v138, v81, v79
	s_wait_loadcnt 0x8
	v_dual_mul_f32 v90, v82, v88 :: v_dual_mul_f32 v79, v32, v79
	v_fmac_f32_e32 v137, v34, v76
	s_delay_alu instid0(VALU_DEP_3) | instskip(SKIP_1) | instid1(VALU_DEP_4)
	v_fma_f32 v139, v36, v76, -v77
	v_fmac_f32_e32 v138, v32, v78
	v_fmac_f32_e32 v90, v33, v87
	v_mul_f32_e32 v36, v33, v88
	ds_load_2addr_b32 v[32:33], v46 offset0:40 offset1:175
	v_mul_f32_e32 v84, v37, v86
	v_mul_f32_e32 v34, v35, v86
	s_wait_loadcnt_dscnt 0x702
	v_mul_f32_e32 v97, v91, v99
	s_wait_dscnt 0x1
	v_mul_f32_e32 v105, v95, v101
	v_fma_f32 v140, v81, v78, -v79
	v_fmac_f32_e32 v84, v35, v85
	v_fma_f32 v141, v37, v85, -v34
	ds_load_2addr_b32 v[34:35], v50 offset0:98 offset1:233
	v_mul_f32_e32 v37, v30, v99
	v_fma_f32 v104, v82, v87, -v36
	s_wait_loadcnt 0x6
	v_mul_f32_e32 v77, v92, v108
	v_dual_mul_f32 v36, v28, v101 :: v_dual_fmac_f32 v97, v30, v98
	v_mul_f32_e32 v78, v96, v110
	v_fma_f32 v111, v91, v98, -v37
	s_delay_alu instid0(VALU_DEP_4) | instskip(NEXT) | instid1(VALU_DEP_4)
	v_fmac_f32_e32 v77, v31, v107
	v_fma_f32 v106, v95, v100, -v36
	s_wait_loadcnt 0x5
	v_dual_mul_f32 v36, v29, v110 :: v_dual_mul_f32 v37, v24, v115
	s_wait_dscnt 0x1
	v_mul_f32_e32 v87, v32, v115
	s_delay_alu instid0(VALU_DEP_2) | instskip(NEXT) | instid1(VALU_DEP_2)
	v_fma_f32 v88, v96, v109, -v36
	v_dual_mul_f32 v36, v26, v113 :: v_dual_fmac_f32 v87, v24, v114
	v_fma_f32 v93, v32, v114, -v37
	s_wait_loadcnt_dscnt 0x400
	v_dual_mul_f32 v82, v34, v113 :: v_dual_mul_f32 v79, v33, v119
	v_dual_fmac_f32 v105, v28, v100 :: v_dual_fmac_f32 v78, v29, v109
	v_mul_f32_e32 v28, v31, v108
	ds_load_2addr_b32 v[30:31], v54 offset0:112 offset1:247
	v_dual_fmac_f32 v82, v26, v112 :: v_dual_fmac_f32 v79, v25, v118
	v_mul_f32_e32 v26, v27, v117
	v_fma_f32 v99, v92, v107, -v28
	ds_load_2addr_b32 v[28:29], v51 offset0:54 offset1:189
	v_mul_f32_e32 v24, v25, v119
	v_fma_f32 v100, v34, v112, -v36
	v_fma_f32 v81, v35, v116, -v26
	s_wait_loadcnt_dscnt 0x301
	v_mul_f32_e32 v89, v30, v41
	v_mul_f32_e32 v76, v35, v117
	ds_load_2addr_b32 v[34:35], v55 offset0:68 offset1:203
	s_wait_dscnt 0x1
	v_dual_mul_f32 v108, v28, v43 :: v_dual_mul_f32 v25, v22, v41
	v_fmac_f32_e32 v89, v22, v40
	v_fmac_f32_e32 v76, v27, v116
	ds_load_2addr_b32 v[26:27], v49 offset0:62 offset1:197
	s_wait_loadcnt 0x2
	v_dual_mul_f32 v95, v31, v121 :: v_dual_mul_f32 v22, v20, v43
	v_fmac_f32_e32 v108, v20, v42
	v_mul_f32_e32 v20, v23, v121
	v_fma_f32 v107, v33, v118, -v24
	v_fma_f32 v117, v30, v40, -v25
	v_fmac_f32_e32 v95, v23, v120
	v_fma_f32 v109, v28, v42, -v22
	ds_load_b32 v102, v1 offset:3240
	ds_load_b32 v92, v61 offset:4860
	ds_load_2addr_b32 v[113:114], v1 offset1:135
	ds_load_2addr_b32 v[42:43], v47 offset0:14 offset1:149
	ds_load_2addr_b32 v[40:41], v52 offset0:28 offset1:163
	ds_load_2addr_b32 v[36:37], v62 offset0:49 offset1:184
	global_wb scope:SCOPE_SE
	s_wait_loadcnt_dscnt 0x0
	s_barrier_signal -1
	s_barrier_wait -1
	global_inv scope:SCOPE_SE
	v_add_f32_e32 v119, v141, v104
	v_mul_f32_e32 v85, v34, v127
	v_mul_f32_e32 v24, v21, v123
	;; [unrolled: 1-line block ×3, first 2 shown]
	s_delay_alu instid0(VALU_DEP_3) | instskip(SKIP_1) | instid1(VALU_DEP_3)
	v_fmac_f32_e32 v85, v16, v126
	v_dual_mul_f32 v83, v26, v125 :: v_dual_mul_f32 v96, v29, v123
	v_dual_mul_f32 v86, v27, v129 :: v_dual_fmac_f32 v103, v17, v130
	v_fma_f32 v101, v29, v122, -v24
	s_delay_alu instid0(VALU_DEP_3)
	v_dual_fmac_f32 v83, v18, v124 :: v_dual_fmac_f32 v96, v21, v122
	v_mul_f32_e32 v21, v16, v127
	v_fma_f32 v110, v31, v120, -v20
	v_mul_f32_e32 v20, v18, v125
	v_fmac_f32_e32 v86, v19, v128
	v_mul_f32_e32 v16, v19, v129
	v_dual_add_f32 v19, v14, v137 :: v_dual_mul_f32 v18, v17, v131
	v_sub_f32_e32 v17, v139, v140
	v_fma_f32 v98, v26, v124, -v20
	v_add_f32_e32 v20, v137, v138
	v_fma_f32 v118, v27, v128, -v16
	v_add_f32_e32 v16, v19, v138
	v_add_f32_e32 v19, v84, v90
	v_fma_f32 v112, v35, v130, -v18
	v_fma_f32 v14, -0.5, v20, v14
	v_fma_f32 v91, v34, v126, -v21
	v_lshlrev_b32_e32 v20, 2, v69
	s_wait_alu 0xf1ff
	v_cndmask_b32_e64 v21, 0, 0x708, s0
	v_cmp_gt_u32_e64 s0, 45, v0
	v_fmamk_f32 v18, v17, 0xbf5db3d7, v14
	v_dual_fmac_f32 v14, 0x3f5db3d7, v17 :: v_dual_add_f32 v17, v15, v84
	v_fmac_f32_e32 v15, -0.5, v19
	v_sub_f32_e32 v19, v141, v104
	ds_store_2addr_b32 v1, v16, v18 offset1:150
	ds_store_b32 v1, v14 offset:1200
	v_add3_u32 v69, 0, v21, v20
	v_add_f32_e32 v14, v17, v90
	v_dual_add_f32 v17, v97, v105 :: v_dual_fmamk_f32 v16, v19, 0xbf5db3d7, v15
	v_fmac_f32_e32 v15, 0x3f5db3d7, v19
	v_mul_u32_u24_e32 v18, 0x708, v39
	v_dual_add_f32 v20, v12, v97 :: v_dual_lshlrev_b32 v19, 2, v72
	s_delay_alu instid0(VALU_DEP_4)
	v_fma_f32 v12, -0.5, v17, v12
	v_sub_f32_e32 v17, v111, v106
	ds_store_2addr_b32 v69, v14, v16 offset1:150
	ds_store_b32 v69, v15 offset:1200
	v_add3_u32 v72, 0, v18, v19
	v_add_f32_e32 v16, v77, v78
	v_mul_u32_u24_e32 v18, 0x708, v38
	v_dual_fmamk_f32 v15, v17, 0xbf5db3d7, v12 :: v_dual_add_f32 v14, v20, v105
	v_dual_fmac_f32 v12, 0x3f5db3d7, v17 :: v_dual_lshlrev_b32 v19, 2, v74
	v_add_f32_e32 v17, v13, v77
	ds_store_2addr_b32 v72, v14, v15 offset1:150
	ds_store_b32 v72, v12 offset:1200
	v_add_f32_e32 v15, v82, v87
	v_fmac_f32_e32 v13, -0.5, v16
	v_sub_f32_e32 v16, v99, v88
	v_add3_u32 v74, 0, v18, v19
	v_dual_add_f32 v12, v17, v78 :: v_dual_lshlrev_b32 v17, 2, v80
	v_add_f32_e32 v18, v10, v82
	v_fma_f32 v10, -0.5, v15, v10
	v_sub_f32_e32 v15, v100, v93
	v_fmamk_f32 v14, v16, 0xbf5db3d7, v13
	v_fmac_f32_e32 v13, 0x3f5db3d7, v16
	v_mul_u32_u24_e32 v16, 0x708, v71
	ds_store_2addr_b32 v74, v12, v14 offset1:150
	ds_store_b32 v74, v13 offset:1200
	v_fmamk_f32 v13, v15, 0xbf5db3d7, v10
	v_add3_u32 v71, 0, v16, v17
	v_add_f32_e32 v12, v18, v87
	v_add_f32_e32 v14, v76, v79
	v_dual_fmac_f32 v10, 0x3f5db3d7, v15 :: v_dual_add_f32 v15, v11, v76
	v_mul_u32_u24_e32 v16, 0x708, v70
	v_lshlrev_b32_e32 v17, 2, v75
	ds_store_2addr_b32 v71, v12, v13 offset1:150
	ds_store_b32 v71, v10 offset:1200
	v_lshl_add_u32 v75, v136, 2, 0
	v_dual_add_f32 v12, v15, v79 :: v_dual_add_f32 v15, v89, v108
	v_dual_fmac_f32 v11, -0.5, v14 :: v_dual_sub_f32 v14, v81, v107
	s_delay_alu instid0(VALU_DEP_3) | instskip(SKIP_1) | instid1(VALU_DEP_3)
	v_add_nc_u32_e32 v80, 0x3800, v75
	v_sub_f32_e32 v84, v84, v90
	v_dual_sub_f32 v90, v97, v105 :: v_dual_fmamk_f32 v13, v14, 0xbf5db3d7, v11
	v_dual_fmac_f32 v11, 0x3f5db3d7, v14 :: v_dual_add_f32 v14, v68, v89
	v_fmac_f32_e32 v68, -0.5, v15
	v_add3_u32 v10, 0, v16, v17
	v_mul_u32_u24_e32 v16, 0x708, v73
	v_lshlrev_b32_e32 v17, 2, v132
	v_sub_f32_e32 v15, v117, v109
	ds_store_2addr_b32 v10, v12, v13 offset1:150
	ds_store_b32 v10, v11 offset:1200
	v_add_f32_e32 v12, v14, v108
	v_add3_u32 v11, 0, v16, v17
	v_dual_fmamk_f32 v13, v15, 0xbf5db3d7, v68 :: v_dual_add_f32 v16, v8, v95
	v_dual_fmac_f32 v68, 0x3f5db3d7, v15 :: v_dual_lshlrev_b32 v15, 2, v134
	v_mul_u32_u24_e32 v14, 0x708, v94
	v_add_f32_e32 v17, v95, v96
	ds_store_2addr_b32 v11, v12, v13 offset1:150
	ds_store_b32 v11, v68 offset:1200
	v_dual_add_f32 v12, v16, v96 :: v_dual_add_f32 v13, v83, v85
	v_add3_u32 v70, 0, v14, v15
	v_sub_f32_e32 v14, v110, v101
	v_fma_f32 v8, -0.5, v17, v8
	v_add_f32_e32 v15, v9, v83
	v_mul_u32_u24_e32 v16, 0x708, v133
	v_lshlrev_b32_e32 v17, 2, v135
	v_fmac_f32_e32 v9, -0.5, v13
	v_sub_f32_e32 v13, v98, v91
	v_fmamk_f32 v18, v14, 0xbf5db3d7, v8
	v_fmac_f32_e32 v8, 0x3f5db3d7, v14
	v_add_f32_e32 v14, v15, v85
	v_add3_u32 v73, 0, v16, v17
	v_sub_f32_e32 v94, v137, v138
	ds_store_2addr_b32 v70, v12, v18 offset1:150
	v_dual_add_f32 v12, v86, v103 :: v_dual_fmamk_f32 v15, v13, 0xbf5db3d7, v9
	v_fmac_f32_e32 v9, 0x3f5db3d7, v13
	ds_store_b32 v70, v8 offset:1200
	ds_store_2addr_b32 v73, v14, v15 offset1:150
	ds_store_b32 v73, v9 offset:1200
	v_dual_add_f32 v8, v67, v86 :: v_dual_fmac_f32 v67, -0.5, v12
	v_dual_sub_f32 v9, v118, v112 :: v_dual_add_f32 v12, v113, v139
	s_delay_alu instid0(VALU_DEP_2) | instskip(NEXT) | instid1(VALU_DEP_2)
	v_dual_add_f32 v8, v8, v103 :: v_dual_add_f32 v13, v139, v140
	v_fmamk_f32 v14, v9, 0xbf5db3d7, v67
	v_fmac_f32_e32 v67, 0x3f5db3d7, v9
	ds_store_2addr_b32 v80, v8, v14 offset0:16 offset1:166
	ds_store_b32 v75, v67 offset:15600
	v_fma_f32 v113, -0.5, v13, v113
	v_add_f32_e32 v9, v12, v140
	global_wb scope:SCOPE_SE
	s_wait_dscnt 0x0
	s_barrier_signal -1
	s_barrier_wait -1
	v_fmamk_f32 v8, v94, 0x3f5db3d7, v113
	global_inv scope:SCOPE_SE
	ds_load_2addr_b32 v[18:19], v1 offset1:135
	ds_load_b32 v68, v1 offset:3240
	ds_load_b32 v67, v61 offset:4860
	ds_load_2addr_b32 v[115:116], v48 offset0:70 offset1:205
	ds_load_2addr_b32 v[38:39], v44 offset0:12 offset1:147
	;; [unrolled: 1-line block ×13, first 2 shown]
	global_wb scope:SCOPE_SE
	s_wait_dscnt 0x0
	s_barrier_signal -1
	s_barrier_wait -1
	global_inv scope:SCOPE_SE
	ds_store_2addr_b32 v1, v9, v8 offset1:150
	v_dual_add_f32 v8, v114, v141 :: v_dual_fmac_f32 v113, 0xbf5db3d7, v94
	v_dual_fmac_f32 v114, -0.5, v119 :: v_dual_add_f32 v9, v111, v106
	s_delay_alu instid0(VALU_DEP_2)
	v_add_f32_e32 v8, v8, v104
	ds_store_b32 v1, v113 offset:1200
	v_fma_f32 v9, -0.5, v9, v42
	v_add_f32_e32 v94, v42, v111
	v_fmamk_f32 v42, v84, 0x3f5db3d7, v114
	ds_store_2addr_b32 v69, v8, v42 offset1:150
	v_add_f32_e32 v8, v99, v88
	s_delay_alu instid0(VALU_DEP_1)
	v_dual_add_f32 v42, v43, v99 :: v_dual_fmac_f32 v43, -0.5, v8
	v_fmac_f32_e32 v114, 0xbf5db3d7, v84
	v_add_f32_e32 v84, v94, v106
	v_fmamk_f32 v94, v90, 0x3f5db3d7, v9
	ds_store_b32 v69, v114 offset:1200
	ds_store_2addr_b32 v72, v84, v94 offset1:150
	v_add_f32_e32 v69, v40, v100
	v_dual_fmac_f32 v9, 0xbf5db3d7, v90 :: v_dual_add_f32 v8, v100, v93
	ds_store_b32 v72, v9 offset:1200
	v_sub_f32_e32 v9, v77, v78
	v_fma_f32 v8, -0.5, v8, v40
	v_add_f32_e32 v78, v41, v81
	s_delay_alu instid0(VALU_DEP_3) | instskip(SKIP_4) | instid1(VALU_DEP_2)
	v_fmamk_f32 v40, v9, 0x3f5db3d7, v43
	v_fmac_f32_e32 v43, 0xbf5db3d7, v9
	v_add_f32_e32 v9, v69, v93
	v_add_f32_e32 v69, v81, v107
	;; [unrolled: 1-line block ×3, first 2 shown]
	v_dual_fmac_f32 v41, -0.5, v69 :: v_dual_sub_f32 v72, v82, v87
	v_dual_sub_f32 v69, v76, v79 :: v_dual_add_f32 v76, v102, v117
	v_dual_add_f32 v87, v37, v98 :: v_dual_sub_f32 v82, v95, v96
	s_delay_alu instid0(VALU_DEP_3) | instskip(NEXT) | instid1(VALU_DEP_3)
	v_dual_fmamk_f32 v77, v72, 0x3f5db3d7, v8 :: v_dual_add_f32 v42, v42, v88
	v_fmamk_f32 v79, v69, 0x3f5db3d7, v41
	v_dual_fmac_f32 v41, 0xbf5db3d7, v69 :: v_dual_fmac_f32 v8, 0xbf5db3d7, v72
	v_add_f32_e32 v69, v76, v109
	v_add_f32_e32 v72, v117, v109
	;; [unrolled: 1-line block ×3, first 2 shown]
	v_fma_f32 v36, -0.5, v81, v36
	s_delay_alu instid0(VALU_DEP_3) | instskip(SKIP_1) | instid1(VALU_DEP_3)
	v_fmac_f32_e32 v102, -0.5, v72
	v_sub_f32_e32 v72, v89, v108
	v_fmamk_f32 v84, v82, 0x3f5db3d7, v36
	v_fmac_f32_e32 v36, 0xbf5db3d7, v82
	s_delay_alu instid0(VALU_DEP_3) | instskip(SKIP_3) | instid1(VALU_DEP_1)
	v_dual_add_f32 v82, v118, v112 :: v_dual_fmamk_f32 v81, v72, 0x3f5db3d7, v102
	v_fmac_f32_e32 v102, 0xbf5db3d7, v72
	v_add_f32_e32 v72, v76, v101
	v_add_f32_e32 v76, v98, v91
	v_dual_fmac_f32 v37, -0.5, v76 :: v_dual_sub_f32 v76, v83, v85
	v_add_f32_e32 v83, v92, v118
	v_fmac_f32_e32 v92, -0.5, v82
	v_sub_f32_e32 v82, v86, v103
	v_add_f32_e32 v78, v78, v107
	v_dual_add_f32 v85, v87, v91 :: v_dual_fmamk_f32 v86, v76, 0x3f5db3d7, v37
	v_fmac_f32_e32 v37, 0xbf5db3d7, v76
	s_delay_alu instid0(VALU_DEP_4)
	v_dual_add_f32 v76, v83, v112 :: v_dual_fmamk_f32 v83, v82, 0x3f5db3d7, v92
	v_fmac_f32_e32 v92, 0xbf5db3d7, v82
	ds_store_2addr_b32 v74, v42, v40 offset1:150
	ds_store_b32 v74, v43 offset:1200
	ds_store_2addr_b32 v71, v9, v77 offset1:150
	ds_store_b32 v71, v8 offset:1200
	;; [unrolled: 2-line block ×6, first 2 shown]
	ds_store_2addr_b32 v80, v76, v83 offset0:16 offset1:166
	ds_store_b32 v75, v92 offset:15600
	v_dual_mov_b32 v9, v5 :: v_dual_lshlrev_b32 v8, 1, v59
	v_subrev_nc_u32_e32 v10, 45, v0
	global_wb scope:SCOPE_SE
	s_wait_dscnt 0x0
	s_barrier_signal -1
	s_barrier_wait -1
	v_lshlrev_b64_e32 v[8:9], 3, v[8:9]
	s_wait_alu 0xf1ff
	v_cndmask_b32_e64 v36, v10, v56, s0
	global_inv scope:SCOPE_SE
	v_mov_b32_e32 v41, v5
	global_load_b128 v[69:72], v[6:7], off offset:3520
	v_and_b32_e32 v37, 0xffff, v63
	v_add_co_u32 v10, s0, s4, v8
	s_wait_alu 0xf1ff
	v_add_co_ci_u32_e64 v11, s0, s5, v9, s0
	v_mov_b32_e32 v9, v5
	v_mul_u32_u24_e32 v37, 0x91a3, v37
	v_and_b32_e32 v77, 0xffff, v65
	global_load_b128 v[73:76], v[10:11], off offset:3520
	v_lshlrev_b32_e32 v40, 1, v60
	v_lshlrev_b32_e32 v8, 1, v36
	v_lshrrev_b32_e32 v37, 24, v37
	s_delay_alu instid0(VALU_DEP_3) | instskip(NEXT) | instid1(VALU_DEP_3)
	v_lshlrev_b64_e32 v[40:41], 3, v[40:41]
	v_lshlrev_b64_e32 v[42:43], 3, v[8:9]
	s_delay_alu instid0(VALU_DEP_3) | instskip(NEXT) | instid1(VALU_DEP_3)
	v_mul_lo_u16 v59, 0x1c2, v37
	v_add_co_u32 v8, s0, s4, v40
	s_wait_alu 0xf1ff
	s_delay_alu instid0(VALU_DEP_4)
	v_add_co_ci_u32_e64 v9, s0, s5, v41, s0
	v_mov_b32_e32 v41, v5
	v_add_co_u32 v42, s0, s4, v42
	global_load_b128 v[78:81], v[8:9], off offset:3520
	v_add_nc_u32_e32 v40, 0xb4, v4
	s_wait_alu 0xf1ff
	v_add_co_ci_u32_e64 v43, s0, s5, v43, s0
	v_add_nc_u32_e32 v4, 0x1c2, v4
	s_delay_alu instid0(VALU_DEP_3)
	v_lshlrev_b64_e32 v[40:41], 3, v[40:41]
	global_load_b128 v[85:88], v[42:43], off offset:3520
	v_and_b32_e32 v42, 0xffff, v64
	v_add_co_u32 v40, s0, s4, v40
	s_wait_alu 0xf1ff
	v_add_co_ci_u32_e64 v41, s0, s5, v41, s0
	s_delay_alu instid0(VALU_DEP_3)
	v_mul_u32_u24_e32 v60, 0x91a3, v42
	v_lshlrev_b64_e32 v[42:43], 3, v[4:5]
	v_sub_nc_u16 v4, v63, v59
	global_load_b128 v[89:92], v[40:41], off offset:3520
	v_lshrrev_b32_e32 v59, 24, v60
	v_mul_u32_u24_e32 v60, 0x91a3, v77
	v_add_co_u32 v40, s0, s4, v42
	v_and_b32_e32 v42, 0xffff, v66
	s_wait_alu 0xf1ff
	v_add_co_ci_u32_e64 v41, s0, s5, v43, s0
	v_mul_lo_u16 v43, 0x1c2, v59
	v_and_b32_e32 v117, 0xffff, v4
	v_mul_u32_u24_e32 v4, 0x91a3, v42
	v_lshrrev_b32_e32 v59, 24, v60
	global_load_b128 v[93:96], v[40:41], off offset:3520
	v_sub_nc_u16 v40, v64, v43
	v_lshlrev_b32_e32 v42, 4, v117
	v_lshrrev_b32_e32 v4, 24, v4
	v_mul_lo_u16 v41, 0x1c2, v59
	v_cmp_lt_u32_e64 s0, 44, v0
	v_and_b32_e32 v118, 0xffff, v40
	global_load_b128 v[97:100], v42, s[4:5] offset:3520
	v_mul_lo_u16 v4, 0x1c2, v4
	v_sub_nc_u16 v40, v65, v41
	v_lshlrev_b32_e32 v41, 4, v118
	s_delay_alu instid0(VALU_DEP_3) | instskip(NEXT) | instid1(VALU_DEP_3)
	v_sub_nc_u16 v4, v66, v4
	v_and_b32_e32 v119, 0xffff, v40
	global_load_b128 v[101:104], v41, s[4:5] offset:3520
	v_and_b32_e32 v120, 0xffff, v4
	v_lshlrev_b32_e32 v40, 4, v119
	s_delay_alu instid0(VALU_DEP_2)
	v_lshlrev_b32_e32 v4, 4, v120
	s_clause 0x1
	global_load_b128 v[105:108], v40, s[4:5] offset:3520
	global_load_b128 v[109:112], v4, s[4:5] offset:3520
	ds_load_2addr_b32 v[40:41], v48 offset0:70 offset1:205
	ds_load_2addr_b32 v[59:60], v44 offset0:12 offset1:147
	;; [unrolled: 1-line block ×4, first 2 shown]
	s_wait_loadcnt_dscnt 0x903
	v_mul_f32_e32 v121, v40, v70
	v_dual_mul_f32 v4, v115, v70 :: v_dual_mul_f32 v43, v38, v72
	s_delay_alu instid0(VALU_DEP_2) | instskip(NEXT) | instid1(VALU_DEP_2)
	v_fmac_f32_e32 v121, v115, v69
	v_fma_f32 v42, v40, v69, -v4
	s_wait_dscnt 0x2
	s_delay_alu instid0(VALU_DEP_3)
	v_fma_f32 v4, v59, v71, -v43
	s_wait_loadcnt 0x8
	v_mul_f32_e32 v115, v41, v74
	v_mul_f32_e32 v40, v116, v74
	;; [unrolled: 1-line block ×4, first 2 shown]
	s_delay_alu instid0(VALU_DEP_4) | instskip(NEXT) | instid1(VALU_DEP_4)
	v_fmac_f32_e32 v115, v116, v73
	v_fma_f32 v116, v41, v73, -v40
	ds_load_2addr_b32 v[40:41], v50 offset0:98 offset1:233
	v_fmac_f32_e32 v123, v39, v75
	s_wait_loadcnt_dscnt 0x701
	v_mul_f32_e32 v77, v113, v81
	s_delay_alu instid0(VALU_DEP_1) | instskip(SKIP_2) | instid1(VALU_DEP_1)
	v_fmac_f32_e32 v77, v32, v80
	s_wait_loadcnt 0x6
	v_mul_f32_e32 v69, v114, v88
	v_fmac_f32_e32 v69, v33, v87
	s_wait_loadcnt_dscnt 0x500
	v_dual_mul_f32 v73, v40, v90 :: v_dual_mul_f32 v122, v59, v72
	v_mul_f32_e32 v72, v82, v79
	v_mul_f32_e32 v59, v34, v79
	s_delay_alu instid0(VALU_DEP_3) | instskip(NEXT) | instid1(VALU_DEP_4)
	v_fmac_f32_e32 v73, v30, v89
	v_fmac_f32_e32 v122, v38, v71
	ds_load_2addr_b32 v[38:39], v46 offset0:40 offset1:175
	v_fma_f32 v71, v60, v75, -v43
	v_dual_mul_f32 v75, v28, v92 :: v_dual_fmac_f32 v72, v34, v78
	v_mul_f32_e32 v43, v83, v86
	v_mul_f32_e32 v34, v35, v86
	v_fma_f32 v84, v82, v78, -v59
	v_mul_f32_e32 v59, v33, v88
	s_delay_alu instid0(VALU_DEP_4) | instskip(NEXT) | instid1(VALU_DEP_4)
	v_fmac_f32_e32 v43, v35, v85
	v_fma_f32 v74, v83, v85, -v34
	ds_load_2addr_b32 v[34:35], v54 offset0:112 offset1:247
	v_mul_f32_e32 v60, v32, v81
	ds_load_2addr_b32 v[32:33], v51 offset0:54 offset1:189
	v_fma_f32 v85, v114, v87, -v59
	s_wait_loadcnt_dscnt 0x402
	v_dual_mul_f32 v59, v41, v94 :: v_dual_mul_f32 v78, v38, v92
	v_mul_f32_e32 v70, v39, v96
	s_delay_alu instid0(VALU_DEP_2) | instskip(SKIP_2) | instid1(VALU_DEP_3)
	v_dual_fmac_f32 v59, v31, v93 :: v_dual_fmac_f32 v78, v28, v91
	v_mul_f32_e32 v28, v31, v94
	s_wait_loadcnt 0x3
	v_dual_fmac_f32 v70, v29, v95 :: v_dual_mul_f32 v31, v26, v98
	s_wait_dscnt 0x1
	v_mul_f32_e32 v79, v34, v98
	v_fma_f32 v81, v113, v80, -v60
	ds_load_2addr_b32 v[113:114], v49 offset0:62 offset1:197
	v_fma_f32 v82, v41, v93, -v28
	s_wait_dscnt 0x1
	v_dual_mul_f32 v93, v32, v100 :: v_dual_mul_f32 v60, v30, v90
	v_mul_f32_e32 v30, v29, v96
	ds_load_2addr_b32 v[28:29], v55 offset0:68 offset1:203
	s_wait_loadcnt 0x2
	v_dual_mul_f32 v86, v33, v104 :: v_dual_fmac_f32 v79, v26, v97
	v_dual_fmac_f32 v93, v24, v99 :: v_dual_mul_f32 v26, v25, v104
	v_fma_f32 v89, v40, v89, -v60
	s_delay_alu instid0(VALU_DEP_3)
	v_fmac_f32_e32 v86, v25, v103
	v_add_f32_e32 v25, v19, v115
	v_fma_f32 v92, v39, v95, -v30
	v_mul_f32_e32 v30, v24, v100
	v_mul_f32_e32 v24, v27, v102
	v_fma_f32 v90, v38, v91, -v75
	v_fma_f32 v91, v33, v103, -v26
	;; [unrolled: 1-line block ×3, first 2 shown]
	s_wait_loadcnt_dscnt 0x101
	v_mul_f32_e32 v60, v113, v106
	v_fma_f32 v94, v35, v101, -v24
	v_mul_f32_e32 v24, v22, v106
	s_wait_loadcnt 0x0
	v_mul_f32_e32 v76, v114, v110
	s_wait_dscnt 0x0
	v_dual_fmac_f32 v60, v22, v105 :: v_dual_mul_f32 v75, v28, v108
	v_mul_f32_e32 v22, v20, v108
	v_fma_f32 v87, v113, v105, -v24
	v_mul_f32_e32 v24, v23, v110
	v_fmac_f32_e32 v76, v23, v109
	v_mul_f32_e32 v104, v29, v112
	v_mul_f32_e32 v23, v21, v112
	v_dual_fmac_f32 v75, v20, v107 :: v_dual_add_f32 v20, v121, v122
	v_fma_f32 v103, v114, v109, -v24
	s_delay_alu instid0(VALU_DEP_4) | instskip(NEXT) | instid1(VALU_DEP_4)
	v_fmac_f32_e32 v104, v21, v111
	v_fma_f32 v105, v29, v111, -v23
	v_add_nc_u32_e32 v111, 0x1600, v61
	v_fma_f32 v83, v28, v107, -v22
	v_add_f32_e32 v22, v115, v123
	v_fma_f32 v20, -0.5, v20, v18
	v_sub_f32_e32 v24, v42, v4
	v_add_f32_e32 v18, v18, v121
	v_mul_f32_e32 v80, v35, v102
	v_dual_fmac_f32 v19, -0.5, v22 :: v_dual_sub_f32 v22, v116, v71
	s_delay_alu instid0(VALU_DEP_4) | instskip(SKIP_2) | instid1(VALU_DEP_4)
	v_fmamk_f32 v21, v24, 0xbf5db3d7, v20
	v_fmac_f32_e32 v20, 0x3f5db3d7, v24
	v_add_nc_u32_e32 v108, 0xe00, v1
	v_dual_add_f32 v24, v25, v123 :: v_dual_fmamk_f32 v23, v22, 0xbf5db3d7, v19
	v_fmac_f32_e32 v19, 0x3f5db3d7, v22
	v_dual_add_f32 v25, v72, v77 :: v_dual_add_f32 v18, v18, v122
	v_fma_f32 v88, v32, v99, -v30
	v_fmac_f32_e32 v80, v27, v101
	ds_load_b32 v106, v1 offset:3240
	ds_load_b32 v107, v61 offset:4860
	ds_load_2addr_b32 v[95:96], v1 offset1:135
	ds_load_2addr_b32 v[97:98], v47 offset0:14 offset1:149
	ds_load_2addr_b32 v[99:100], v52 offset0:28 offset1:163
	;; [unrolled: 1-line block ×3, first 2 shown]
	global_wb scope:SCOPE_SE
	s_wait_dscnt 0x0
	s_barrier_signal -1
	v_add_f32_e32 v22, v16, v72
	s_barrier_wait -1
	global_inv scope:SCOPE_SE
	ds_store_2addr_b32 v108, v20, v19 offset0:4 offset1:139
	ds_store_2addr_b32 v1, v18, v24 offset1:135
	v_fma_f32 v16, -0.5, v25, v16
	v_sub_f32_e32 v19, v84, v81
	v_add_f32_e32 v22, v22, v77
	v_add_f32_e32 v18, v43, v69
	;; [unrolled: 1-line block ×3, first 2 shown]
	v_sub_f32_e32 v72, v72, v77
	v_fmamk_f32 v24, v19, 0xbf5db3d7, v16
	v_fmac_f32_e32 v16, 0x3f5db3d7, v19
	ds_store_2addr_b32 v47, v22, v21 offset0:14 offset1:194
	v_dual_fmac_f32 v17, -0.5, v18 :: v_dual_sub_f32 v18, v74, v85
	v_lshlrev_b32_e32 v21, 2, v36
	s_wait_alu 0xf1ff
	v_cndmask_b32_e64 v22, 0, 0x1518, s0
	ds_store_2addr_b32 v52, v23, v24 offset0:73 offset1:208
	ds_store_b32 v1, v16 offset:4680
	v_dual_add_f32 v16, v59, v70 :: v_dual_fmamk_f32 v19, v18, 0xbf5db3d7, v17
	v_fmac_f32_e32 v17, 0x3f5db3d7, v18
	v_add3_u32 v109, 0, v22, v21
	v_add_f32_e32 v18, v20, v69
	v_dual_add_f32 v20, v73, v78 :: v_dual_add_f32 v21, v15, v59
	v_fmac_f32_e32 v15, -0.5, v16
	v_sub_f32_e32 v16, v82, v92
	ds_store_b32 v109, v18
	v_fma_f32 v18, -0.5, v20, v14
	v_sub_f32_e32 v20, v89, v90
	ds_store_b32 v109, v17 offset:3600
	ds_store_b32 v109, v19 offset:1800
	v_fmamk_f32 v19, v16, 0xbf5db3d7, v15
	v_dual_fmac_f32 v15, 0x3f5db3d7, v16 :: v_dual_add_f32 v16, v79, v93
	v_dual_add_f32 v14, v14, v73 :: v_dual_fmamk_f32 v17, v20, 0xbf5db3d7, v18
	v_dual_fmac_f32 v18, 0x3f5db3d7, v20 :: v_dual_sub_f32 v59, v59, v70
	v_add_nc_u32_e32 v110, 0x2400, v61
	v_dual_add_f32 v20, v21, v70 :: v_dual_add_f32 v21, v68, v79
	v_fmac_f32_e32 v68, -0.5, v16
	v_sub_f32_e32 v16, v124, v88
	v_add_f32_e32 v14, v14, v78
	v_add_nc_u32_e32 v112, 0x1c00, v61
	v_add_f32_e32 v22, v80, v86
	ds_store_2addr_b32 v110, v18, v15 offset0:36 offset1:171
	ds_store_2addr_b32 v111, v14, v20 offset0:32 offset1:167
	;; [unrolled: 1-line block ×3, first 2 shown]
	v_fmamk_f32 v14, v16, 0xbf5db3d7, v68
	v_fmac_f32_e32 v68, 0x3f5db3d7, v16
	v_mul_u32_u24_e32 v18, 0x1518, v37
	v_lshlrev_b32_e32 v19, 2, v117
	v_sub_f32_e32 v70, v79, v93
	v_add_f32_e32 v16, v60, v75
	v_fma_f32 v15, -0.5, v22, v12
	v_dual_sub_f32 v17, v94, v91 :: v_dual_add_f32 v22, v13, v60
	v_add3_u32 v113, 0, v18, v19
	s_delay_alu instid0(VALU_DEP_4) | instskip(SKIP_1) | instid1(VALU_DEP_4)
	v_dual_fmac_f32 v13, -0.5, v16 :: v_dual_sub_f32 v16, v87, v83
	v_add_f32_e32 v18, v21, v93
	v_fmamk_f32 v20, v17, 0xbf5db3d7, v15
	v_fmac_f32_e32 v15, 0x3f5db3d7, v17
	ds_store_b32 v113, v18
	ds_store_b32 v113, v14 offset:1800
	ds_store_b32 v113, v68 offset:3600
	v_dual_fmamk_f32 v17, v16, 0xbf5db3d7, v13 :: v_dual_add_f32 v14, v22, v75
	v_sub_f32_e32 v60, v60, v75
	v_sub_f32_e32 v75, v76, v104
	v_add_f32_e32 v12, v12, v80
	v_lshl_add_u32 v114, v118, 2, 0
	v_lshl_add_u32 v68, v119, 2, 0
	v_fmac_f32_e32 v13, 0x3f5db3d7, v16
	v_add_f32_e32 v16, v67, v76
	v_add_f32_e32 v12, v12, v86
	ds_store_b32 v114, v12 offset:10800
	ds_store_b32 v114, v20 offset:12600
	;; [unrolled: 1-line block ×4, first 2 shown]
	v_add_f32_e32 v14, v42, v4
	v_add_f32_e32 v15, v76, v104
	;; [unrolled: 1-line block ×3, first 2 shown]
	v_sub_f32_e32 v16, v121, v122
	v_lshl_add_u32 v117, v120, 2, 0
	v_fma_f32 v118, -0.5, v14, v95
	v_dual_fmac_f32 v67, -0.5, v15 :: v_dual_sub_f32 v14, v103, v105
	v_sub_f32_e32 v15, v115, v123
	ds_store_b32 v68, v17 offset:12600
	v_fmamk_f32 v115, v16, 0x3f5db3d7, v118
	v_fmac_f32_e32 v118, 0xbf5db3d7, v16
	v_dual_fmamk_f32 v16, v14, 0xbf5db3d7, v67 :: v_dual_add_f32 v17, v116, v71
	v_fmac_f32_e32 v67, 0x3f5db3d7, v14
	ds_store_b32 v68, v13 offset:14400
	ds_store_b32 v117, v12 offset:10800
	;; [unrolled: 1-line block ×4, first 2 shown]
	v_add_f32_e32 v67, v84, v81
	v_add_f32_e32 v116, v96, v116
	v_fmac_f32_e32 v96, -0.5, v17
	v_add_f32_e32 v42, v95, v42
	v_add_f32_e32 v84, v97, v84
	v_fma_f32 v67, -0.5, v67, v97
	global_wb scope:SCOPE_SE
	s_wait_dscnt 0x0
	v_fmamk_f32 v119, v15, 0x3f5db3d7, v96
	v_fmac_f32_e32 v96, 0xbf5db3d7, v15
	v_add_f32_e32 v4, v42, v4
	v_add_f32_e32 v42, v116, v71
	s_barrier_signal -1
	s_barrier_wait -1
	global_inv scope:SCOPE_SE
	ds_load_b32 v40, v1 offset:3240
	ds_load_b32 v41, v61 offset:4860
	ds_load_2addr_b32 v[34:35], v1 offset1:135
	ds_load_2addr_b32 v[36:37], v48 offset0:70 offset1:205
	ds_load_2addr_b32 v[38:39], v44 offset0:12 offset1:147
	;; [unrolled: 1-line block ×13, first 2 shown]
	v_add_f32_e32 v71, v84, v81
	v_fmamk_f32 v77, v72, 0x3f5db3d7, v67
	global_wb scope:SCOPE_SE
	s_wait_dscnt 0x0
	s_barrier_signal -1
	s_barrier_wait -1
	global_inv scope:SCOPE_SE
	ds_store_2addr_b32 v108, v118, v96 offset0:4 offset1:139
	v_add_f32_e32 v81, v74, v85
	ds_store_2addr_b32 v1, v4, v42 offset1:135
	ds_store_2addr_b32 v47, v71, v115 offset0:14 offset1:194
	ds_store_2addr_b32 v52, v119, v77 offset0:73 offset1:208
	v_dual_sub_f32 v42, v43, v69 :: v_dual_add_f32 v43, v89, v90
	v_add_f32_e32 v4, v98, v74
	v_fmac_f32_e32 v98, -0.5, v81
	v_add_f32_e32 v69, v99, v89
	v_sub_f32_e32 v71, v73, v78
	v_fma_f32 v43, -0.5, v43, v99
	v_fmac_f32_e32 v67, 0xbf5db3d7, v72
	v_fmamk_f32 v72, v42, 0x3f5db3d7, v98
	v_fmac_f32_e32 v98, 0xbf5db3d7, v42
	v_dual_add_f32 v42, v69, v90 :: v_dual_add_f32 v69, v82, v92
	v_fmamk_f32 v73, v71, 0x3f5db3d7, v43
	v_fmac_f32_e32 v43, 0xbf5db3d7, v71
	v_add_f32_e32 v71, v124, v88
	v_dual_add_f32 v77, v94, v91 :: v_dual_add_f32 v74, v100, v82
	v_dual_fmac_f32 v100, -0.5, v69 :: v_dual_add_f32 v69, v106, v124
	s_delay_alu instid0(VALU_DEP_3) | instskip(SKIP_1) | instid1(VALU_DEP_4)
	v_fmac_f32_e32 v106, -0.5, v71
	v_sub_f32_e32 v78, v80, v86
	v_fma_f32 v77, -0.5, v77, v101
	s_delay_alu instid0(VALU_DEP_4) | instskip(NEXT) | instid1(VALU_DEP_4)
	v_dual_add_f32 v71, v74, v92 :: v_dual_fmamk_f32 v74, v59, 0x3f5db3d7, v100
	v_fmamk_f32 v79, v70, 0x3f5db3d7, v106
	v_fmac_f32_e32 v106, 0xbf5db3d7, v70
	v_add_f32_e32 v70, v87, v83
	v_fmamk_f32 v80, v78, 0x3f5db3d7, v77
	v_dual_fmac_f32 v77, 0xbf5db3d7, v78 :: v_dual_add_f32 v78, v103, v105
	v_dual_fmac_f32 v100, 0xbf5db3d7, v59 :: v_dual_add_f32 v59, v69, v88
	v_add_f32_e32 v69, v101, v94
	v_dual_add_f32 v81, v102, v87 :: v_dual_fmac_f32 v102, -0.5, v70
	s_delay_alu instid0(VALU_DEP_4) | instskip(NEXT) | instid1(VALU_DEP_3)
	v_dual_add_f32 v70, v107, v103 :: v_dual_fmac_f32 v107, -0.5, v78
	v_dual_add_f32 v4, v4, v85 :: v_dual_add_f32 v69, v69, v91
	s_delay_alu instid0(VALU_DEP_3) | instskip(NEXT) | instid1(VALU_DEP_4)
	v_add_f32_e32 v76, v81, v83
	v_fmamk_f32 v78, v60, 0x3f5db3d7, v102
	v_fmac_f32_e32 v102, 0xbf5db3d7, v60
	v_add_f32_e32 v60, v70, v105
	v_fmamk_f32 v70, v75, 0x3f5db3d7, v107
	v_fmac_f32_e32 v107, 0xbf5db3d7, v75
	ds_store_b32 v1, v67 offset:4680
	ds_store_b32 v109, v4
	ds_store_b32 v109, v72 offset:1800
	ds_store_b32 v109, v98 offset:3600
	ds_store_2addr_b32 v111, v42, v71 offset0:32 offset1:167
	ds_store_2addr_b32 v112, v73, v74 offset0:98 offset1:233
	;; [unrolled: 1-line block ×3, first 2 shown]
	ds_store_b32 v113, v59
	ds_store_b32 v113, v79 offset:1800
	ds_store_b32 v113, v106 offset:3600
	;; [unrolled: 1-line block ×11, first 2 shown]
	global_wb scope:SCOPE_SE
	s_wait_dscnt 0x0
	s_barrier_signal -1
	s_barrier_wait -1
	global_inv scope:SCOPE_SE
	s_and_saveexec_b32 s0, vcc_lo
	s_cbranch_execz .LBB0_13
; %bb.12:
	s_clause 0x1
	global_load_b128 v[67:70], v[10:11], off offset:10720
	global_load_b128 v[71:74], v[6:7], off offset:10720
	v_lshlrev_b32_e32 v4, 1, v66
	s_delay_alu instid0(VALU_DEP_1) | instskip(SKIP_1) | instid1(VALU_DEP_1)
	v_lshlrev_b64_e32 v[6:7], 3, v[4:5]
	v_lshlrev_b32_e32 v4, 1, v65
	v_lshlrev_b64_e32 v[10:11], 3, v[4:5]
	s_delay_alu instid0(VALU_DEP_3) | instskip(SKIP_1) | instid1(VALU_DEP_4)
	v_add_co_u32 v6, vcc_lo, s4, v6
	s_wait_alu 0xfffd
	v_add_co_ci_u32_e32 v7, vcc_lo, s5, v7, vcc_lo
	v_lshlrev_b32_e32 v4, 1, v64
	s_delay_alu instid0(VALU_DEP_4)
	v_add_co_u32 v10, vcc_lo, s4, v10
	s_wait_alu 0xfffd
	v_add_co_ci_u32_e32 v11, vcc_lo, s5, v11, vcc_lo
	s_clause 0x2
	global_load_b128 v[75:78], v[6:7], off offset:10720
	global_load_b128 v[79:82], v[10:11], off offset:10720
	;; [unrolled: 1-line block ×3, first 2 shown]
	s_wait_loadcnt 0x3
	v_mul_f32_e32 v113, v38, v74
	v_lshlrev_b64_e32 v[10:11], 3, v[4:5]
	v_lshlrev_b32_e32 v4, 1, v63
	s_delay_alu instid0(VALU_DEP_2) | instskip(SKIP_1) | instid1(VALU_DEP_3)
	v_add_co_u32 v10, vcc_lo, s4, v10
	s_wait_alu 0xfffd
	v_add_co_ci_u32_e32 v11, vcc_lo, s5, v11, vcc_lo
	global_load_b128 v[83:86], v[10:11], off offset:10720
	v_lshlrev_b64_e32 v[10:11], 3, v[4:5]
	v_lshlrev_b32_e32 v4, 1, v58
	s_delay_alu instid0(VALU_DEP_2) | instskip(SKIP_1) | instid1(VALU_DEP_3)
	v_add_co_u32 v10, vcc_lo, s4, v10
	s_wait_alu 0xfffd
	v_add_co_ci_u32_e32 v11, vcc_lo, s5, v11, vcc_lo
	global_load_b128 v[87:90], v[10:11], off offset:10720
	;; [unrolled: 7-line block ×4, first 2 shown]
	v_lshlrev_b64_e32 v[10:11], 3, v[4:5]
	v_mul_hi_u32 v4, 0xc22e4507, v63
	v_mul_hi_u32 v63, 0xc22e4507, v65
	s_delay_alu instid0(VALU_DEP_3) | instskip(SKIP_1) | instid1(VALU_DEP_4)
	v_add_co_u32 v10, vcc_lo, s4, v10
	s_wait_alu 0xfffd
	v_add_co_ci_u32_e32 v11, vcc_lo, s5, v11, vcc_lo
	s_delay_alu instid0(VALU_DEP_4)
	v_lshrrev_b32_e32 v4, 10, v4
	v_add_co_u32 v65, vcc_lo, s8, v2
	global_load_b128 v[95:98], v[10:11], off offset:10720
	ds_load_2addr_b32 v[10:11], v49 offset0:62 offset1:197
	ds_load_2addr_b32 v[42:43], v55 offset0:68 offset1:203
	;; [unrolled: 1-line block ×5, first 2 shown]
	ds_load_b32 v109, v61 offset:4860
	ds_load_b32 v110, v1 offset:3240
	ds_load_2addr_b32 v[51:52], v52 offset0:28 offset1:163
	ds_load_2addr_b32 v[49:50], v50 offset0:98 offset1:233
	;; [unrolled: 1-line block ×6, first 2 shown]
	ds_load_2addr_b32 v[105:106], v1 offset1:135
	ds_load_2addr_b32 v[107:108], v48 offset0:70 offset1:205
	ds_load_2addr_b32 v[44:45], v44 offset0:12 offset1:147
	v_mul_hi_u32 v48, 0xc22e4507, v64
	v_mul_u32_u24_e32 v4, 0xa8c, v4
	v_mov_b32_e32 v1, v5
	v_mul_hi_u32 v64, 0xc22e4507, v66
	s_wait_alu 0xfffd
	v_add_co_ci_u32_e32 v66, vcc_lo, s9, v3, vcc_lo
	v_lshrrev_b32_e32 v111, 10, v63
	v_lshlrev_b64_e32 v[2:3], 3, v[4:5]
	v_lshrrev_b32_e32 v48, 10, v48
	v_lshlrev_b64_e32 v[0:1], 3, v[0:1]
	v_lshrrev_b32_e32 v112, 10, v64
	s_delay_alu instid0(VALU_DEP_3) | instskip(NEXT) | instid1(VALU_DEP_3)
	v_mul_u32_u24_e32 v4, 0xa8c, v48
	v_add_co_u32 v0, vcc_lo, v65, v0
	s_wait_alu 0xfffd
	s_delay_alu instid0(VALU_DEP_4) | instskip(NEXT) | instid1(VALU_DEP_3)
	v_add_co_ci_u32_e32 v1, vcc_lo, v66, v1, vcc_lo
	v_lshlrev_b64_e32 v[63:64], 3, v[4:5]
	v_mul_u32_u24_e32 v4, 0xa8c, v111
	v_mul_f32_e32 v111, v39, v70
	s_wait_dscnt 0x0
	v_mul_f32_e32 v70, v45, v70
	v_mul_f32_e32 v74, v44, v74
	v_add_co_u32 v2, vcc_lo, v0, v2
	v_lshlrev_b64_e32 v[65:66], 3, v[4:5]
	v_mul_u32_u24_e32 v4, 0xa8c, v112
	v_mul_f32_e32 v112, v36, v72
	v_mul_f32_e32 v72, v107, v72
	v_fmac_f32_e32 v70, v39, v69
	v_fmac_f32_e32 v74, v38, v73
	v_fma_f32 v39, v73, v44, -v113
	v_fma_f32 v45, v69, v45, -v111
	v_fmac_f32_e32 v72, v36, v71
	v_mul_f32_e32 v48, v37, v68
	v_mul_f32_e32 v68, v108, v68
	s_wait_alu 0xfffd
	v_add_co_ci_u32_e32 v3, vcc_lo, v1, v3, vcc_lo
	v_add_co_u32 v63, vcc_lo, v0, v63
	s_delay_alu instid0(VALU_DEP_3)
	v_fmac_f32_e32 v68, v37, v67
	v_fma_f32 v37, v71, v107, -v112
	v_add_f32_e32 v107, v72, v74
	v_fma_f32 v48, v67, v108, -v48
	v_lshlrev_b64_e32 v[4:5], 3, v[4:5]
	v_add_f32_e32 v44, v68, v70
	v_sub_f32_e32 v69, v68, v70
	v_dual_add_f32 v67, v35, v68 :: v_dual_add_f32 v68, v37, v39
	v_add_f32_e32 v73, v105, v37
	v_sub_f32_e32 v108, v37, v39
	v_fma_f32 v35, -0.5, v44, v35
	v_fma_f32 v44, -0.5, v107, v34
	v_add_f32_e32 v38, v106, v48
	v_add_f32_e32 v36, v48, v45
	v_dual_sub_f32 v48, v48, v45 :: v_dual_add_f32 v37, v67, v70
	s_wait_alu 0xfffd
	v_add_co_ci_u32_e32 v64, vcc_lo, v1, v64, vcc_lo
	v_add_f32_e32 v38, v38, v45
	v_fma_f32 v45, -0.5, v68, v105
	s_wait_loadcnt 0x5
	v_mul_f32_e32 v105, v53, v9
	v_dual_add_f32 v68, v73, v39 :: v_dual_mul_f32 v73, v11, v76
	v_mul_f32_e32 v39, v33, v78
	v_add_co_u32 v65, vcc_lo, v0, v65
	s_delay_alu instid0(VALU_DEP_4) | instskip(NEXT) | instid1(VALU_DEP_4)
	v_fmac_f32_e32 v105, v18, v8
	v_fmac_f32_e32 v73, v31, v75
	v_fma_f32 v36, -0.5, v36, v106
	s_wait_alu 0xfffd
	v_add_co_ci_u32_e32 v66, vcc_lo, v1, v66, vcc_lo
	v_add_co_u32 v4, vcc_lo, v0, v4
	s_delay_alu instid0(VALU_DEP_3)
	v_fmamk_f32 v70, v69, 0xbf5db3d7, v36
	v_dual_fmac_f32 v36, 0x3f5db3d7, v69 :: v_dual_fmamk_f32 v69, v48, 0x3f5db3d7, v35
	v_fmac_f32_e32 v35, 0xbf5db3d7, v48
	v_dual_sub_f32 v71, v72, v74 :: v_dual_add_f32 v72, v34, v72
	v_mul_f32_e32 v34, v31, v76
	v_mul_f32_e32 v76, v16, v7
	;; [unrolled: 1-line block ×4, first 2 shown]
	v_add_f32_e32 v67, v72, v74
	v_mul_f32_e32 v74, v43, v78
	s_delay_alu instid0(VALU_DEP_4) | instskip(SKIP_2) | instid1(VALU_DEP_3)
	v_dual_mul_f32 v78, v18, v9 :: v_dual_fmac_f32 v7, v16, v6
	s_wait_alu 0xfffd
	v_add_co_ci_u32_e32 v5, vcc_lo, v1, v5, vcc_lo
	v_dual_fmac_f32 v74, v33, v77 :: v_dual_mul_f32 v33, v32, v82
	s_delay_alu instid0(VALU_DEP_1)
	v_sub_f32_e32 v16, v73, v74
	v_add_f32_e32 v18, v73, v74
	v_add_f32_e32 v73, v41, v73
	v_fma_f32 v9, v75, v11, -v34
	v_fma_f32 v11, v77, v43, -v39
	v_mul_f32_e32 v39, v42, v82
	v_sub_f32_e32 v77, v7, v105
	v_fma_f32 v43, v6, v103, -v76
	v_fma_f32 v33, v81, v42, -v33
	s_delay_alu instid0(VALU_DEP_4)
	v_dual_add_f32 v6, v9, v11 :: v_dual_fmac_f32 v39, v32, v81
	s_wait_loadcnt 0x4
	v_mul_f32_e32 v75, v100, v84
	v_mul_f32_e32 v34, v10, v80
	v_fma_f32 v48, v8, v53, -v78
	v_sub_f32_e32 v53, v9, v11
	v_fma_f32 v10, v79, v10, -v31
	v_fmac_f32_e32 v75, v27, v83
	v_dual_fmac_f32 v34, v30, v79 :: v_dual_mul_f32 v31, v29, v86
	v_dual_mul_f32 v76, v102, v86 :: v_dual_add_f32 v79, v12, v7
	v_add_f32_e32 v8, v109, v9
	v_mul_f32_e32 v30, v27, v84
	v_add_f32_e32 v32, v43, v48
	v_fma_f32 v84, v85, v102, -v31
	v_fmac_f32_e32 v76, v29, v85
	v_add_f32_e32 v42, v46, v43
	s_wait_loadcnt 0x3
	v_mul_f32_e32 v27, v26, v88
	v_mul_f32_e32 v85, v99, v88
	v_add_f32_e32 v78, v7, v105
	v_fma_f32 v7, -0.5, v6, v109
	v_add_f32_e32 v29, v79, v105
	v_fma_f32 v6, -0.5, v18, v41
	v_fmac_f32_e32 v85, v26, v87
	v_sub_f32_e32 v43, v43, v48
	v_add_f32_e32 v41, v56, v10
	v_fma_f32 v82, v83, v100, -v30
	v_dual_mul_f32 v83, v28, v90 :: v_dual_fmamk_f32 v72, v71, 0xbf5db3d7, v45
	v_dual_add_f32 v9, v8, v11 :: v_dual_add_f32 v8, v73, v74
	v_fma_f32 v11, -0.5, v32, v46
	v_dual_add_f32 v30, v42, v48 :: v_dual_fmamk_f32 v31, v53, 0x3f5db3d7, v6
	v_add_f32_e32 v48, v24, v75
	v_fmac_f32_e32 v6, 0xbf5db3d7, v53
	v_fma_f32 v53, v87, v99, -v27
	v_fmamk_f32 v32, v16, 0xbf5db3d7, v7
	v_dual_fmac_f32 v7, 0x3f5db3d7, v16 :: v_dual_add_f32 v74, v34, v39
	v_dual_add_f32 v81, v25, v34 :: v_dual_add_f32 v18, v10, v33
	s_wait_loadcnt 0x2
	v_dual_mul_f32 v79, v23, v94 :: v_dual_sub_f32 v80, v10, v33
	v_fma_f32 v10, -0.5, v78, v12
	v_add_f32_e32 v42, v41, v33
	v_add_f32_e32 v41, v81, v39
	v_dual_mul_f32 v81, v50, v92 :: v_dual_fmamk_f32 v26, v77, 0xbf5db3d7, v11
	v_fmac_f32_e32 v11, 0x3f5db3d7, v77
	v_fma_f32 v33, -0.5, v74, v25
	v_fmac_f32_e32 v45, 0x3f5db3d7, v71
	v_fmamk_f32 v71, v108, 0x3f5db3d7, v44
	v_dual_fmac_f32 v44, 0xbf5db3d7, v108 :: v_dual_sub_f32 v73, v34, v39
	v_fma_f32 v34, -0.5, v18, v56
	v_add_f32_e32 v12, v82, v84
	v_dual_mul_f32 v78, v21, v92 :: v_dual_fmamk_f32 v25, v43, 0x3f5db3d7, v10
	v_dual_mul_f32 v86, v101, v90 :: v_dual_fmamk_f32 v27, v80, 0x3f5db3d7, v33
	v_fmac_f32_e32 v33, 0xbf5db3d7, v80
	v_dual_sub_f32 v16, v75, v76 :: v_dual_fmac_f32 v81, v21, v91
	v_add_f32_e32 v39, v75, v76
	v_fma_f32 v75, v89, v101, -v83
	s_wait_loadcnt 0x1
	v_mul_f32_e32 v21, v20, v58
	v_mul_f32_e32 v58, v49, v58
	v_add_f32_e32 v18, v55, v82
	v_fma_f32 v56, -0.5, v12, v55
	v_fma_f32 v55, -0.5, v39, v24
	v_fmac_f32_e32 v86, v28, v89
	v_fmamk_f32 v28, v73, 0xbf5db3d7, v34
	v_dual_fmac_f32 v34, 0x3f5db3d7, v73 :: v_dual_add_f32 v73, v48, v76
	v_dual_add_f32 v12, v53, v75 :: v_dual_add_f32 v39, v110, v53
	v_fma_f32 v50, v91, v50, -v78
	v_fmac_f32_e32 v58, v20, v57
	v_dual_sub_f32 v48, v53, v75 :: v_dual_add_f32 v53, v40, v85
	v_sub_f32_e32 v46, v82, v84
	v_mul_f32_e32 v82, v62, v94
	v_fma_f32 v62, v93, v62, -v79
	v_mul_f32_e32 v79, v22, v60
	v_fma_f32 v76, -0.5, v12, v110
	v_dual_add_f32 v78, v39, v75 :: v_dual_add_f32 v39, v52, v50
	s_delay_alu instid0(VALU_DEP_4)
	v_add_f32_e32 v12, v50, v62
	v_sub_f32_e32 v50, v50, v62
	v_mul_f32_e32 v60, v61, v60
	v_fma_f32 v61, v59, v61, -v79
	v_add_f32_e32 v77, v53, v86
	v_add_f32_e32 v53, v15, v81
	v_fma_f32 v49, v57, v49, -v21
	s_wait_loadcnt 0x0
	v_dual_fmac_f32 v60, v22, v59 :: v_dual_mul_f32 v59, v104, v96
	v_dual_fmac_f32 v82, v23, v93 :: v_dual_fmamk_f32 v23, v46, 0x3f5db3d7, v55
	v_fmac_f32_e32 v55, 0xbf5db3d7, v46
	v_mul_f32_e32 v57, v19, v98
	s_delay_alu instid0(VALU_DEP_4) | instskip(SKIP_2) | instid1(VALU_DEP_4)
	v_fmac_f32_e32 v59, v17, v95
	v_dual_fmac_f32 v10, 0xbf5db3d7, v43 :: v_dual_add_f32 v43, v85, v86
	v_mul_f32_e32 v79, v54, v98
	v_fma_f32 v54, v97, v54, -v57
	v_mul_f32_e32 v22, v17, v96
	v_add_f32_e32 v74, v18, v84
	v_fma_f32 v75, -0.5, v43, v40
	v_dual_fmac_f32 v79, v19, v97 :: v_dual_add_f32 v46, v81, v82
	v_sub_f32_e32 v43, v81, v82
	v_add_f32_e32 v40, v39, v62
	v_add_f32_e32 v39, v53, v82
	s_delay_alu instid0(VALU_DEP_4)
	v_add_f32_e32 v57, v59, v79
	v_fma_f32 v15, -0.5, v46, v15
	v_dual_fmamk_f32 v24, v16, 0xbf5db3d7, v56 :: v_dual_add_f32 v53, v14, v58
	v_sub_f32_e32 v18, v85, v86
	v_fmamk_f32 v20, v48, 0x3f5db3d7, v75
	v_dual_fmac_f32 v75, 0xbf5db3d7, v48 :: v_dual_add_f32 v48, v51, v49
	v_fmac_f32_e32 v56, 0x3f5db3d7, v16
	v_fma_f32 v22, v95, v104, -v22
	v_sub_f32_e32 v19, v59, v79
	v_fma_f32 v16, -0.5, v12, v52
	v_dual_add_f32 v12, v49, v61 :: v_dual_fmamk_f32 v21, v18, 0xbf5db3d7, v76
	v_fmac_f32_e32 v76, 0x3f5db3d7, v18
	v_sub_f32_e32 v62, v49, v61
	s_delay_alu instid0(VALU_DEP_4)
	v_fmamk_f32 v18, v43, 0xbf5db3d7, v16
	v_fmac_f32_e32 v16, 0x3f5db3d7, v43
	v_fma_f32 v49, -0.5, v12, v51
	v_dual_add_f32 v43, v47, v22 :: v_dual_sub_f32 v46, v58, v60
	v_fmamk_f32 v17, v50, 0x3f5db3d7, v15
	v_dual_fmac_f32 v15, 0xbf5db3d7, v50 :: v_dual_add_f32 v50, v53, v60
	v_add_f32_e32 v12, v22, v54
	s_delay_alu instid0(VALU_DEP_4) | instskip(SKIP_4) | instid1(VALU_DEP_4)
	v_fmamk_f32 v53, v46, 0xbf5db3d7, v49
	v_dual_fmac_f32 v49, 0x3f5db3d7, v46 :: v_dual_add_f32 v52, v58, v60
	v_dual_add_f32 v58, v13, v59 :: v_dual_add_f32 v51, v48, v61
	v_sub_f32_e32 v22, v22, v54
	v_fma_f32 v13, -0.5, v57, v13
	v_fma_f32 v48, -0.5, v52, v14
	;; [unrolled: 1-line block ×3, first 2 shown]
	v_dual_add_f32 v47, v43, v54 :: v_dual_add_f32 v46, v58, v79
	s_clause 0x3
	global_store_b64 v[0:1], v[35:36], off offset:11880
	global_store_b64 v[0:1], v[50:51], off offset:4320
	;; [unrolled: 1-line block ×4, first 2 shown]
	v_fmamk_f32 v35, v22, 0x3f5db3d7, v13
	v_fmamk_f32 v52, v62, 0x3f5db3d7, v48
	v_fmac_f32_e32 v48, 0xbf5db3d7, v62
	v_fmamk_f32 v36, v19, 0xbf5db3d7, v14
	v_fmac_f32_e32 v14, 0x3f5db3d7, v19
	v_fmac_f32_e32 v13, 0xbf5db3d7, v22
	s_clause 0x19
	global_store_b64 v[0:1], v[67:68], off
	global_store_b64 v[0:1], v[37:38], off offset:1080
	global_store_b64 v[0:1], v[29:30], off offset:2160
	;; [unrolled: 1-line block ×25, first 2 shown]
.LBB0_13:
	s_nop 0
	s_sendmsg sendmsg(MSG_DEALLOC_VGPRS)
	s_endpgm
	.section	.rodata,"a",@progbits
	.p2align	6, 0x0
	.amdhsa_kernel fft_rtc_back_len4050_factors_10_5_3_3_3_3_wgs_135_tpt_135_halfLds_sp_ip_CI_unitstride_sbrr_dirReg
		.amdhsa_group_segment_fixed_size 0
		.amdhsa_private_segment_fixed_size 0
		.amdhsa_kernarg_size 88
		.amdhsa_user_sgpr_count 2
		.amdhsa_user_sgpr_dispatch_ptr 0
		.amdhsa_user_sgpr_queue_ptr 0
		.amdhsa_user_sgpr_kernarg_segment_ptr 1
		.amdhsa_user_sgpr_dispatch_id 0
		.amdhsa_user_sgpr_private_segment_size 0
		.amdhsa_wavefront_size32 1
		.amdhsa_uses_dynamic_stack 0
		.amdhsa_enable_private_segment 0
		.amdhsa_system_sgpr_workgroup_id_x 1
		.amdhsa_system_sgpr_workgroup_id_y 0
		.amdhsa_system_sgpr_workgroup_id_z 0
		.amdhsa_system_sgpr_workgroup_info 0
		.amdhsa_system_vgpr_workitem_id 0
		.amdhsa_next_free_vgpr 148
		.amdhsa_next_free_sgpr 32
		.amdhsa_reserve_vcc 1
		.amdhsa_float_round_mode_32 0
		.amdhsa_float_round_mode_16_64 0
		.amdhsa_float_denorm_mode_32 3
		.amdhsa_float_denorm_mode_16_64 3
		.amdhsa_fp16_overflow 0
		.amdhsa_workgroup_processor_mode 1
		.amdhsa_memory_ordered 1
		.amdhsa_forward_progress 0
		.amdhsa_round_robin_scheduling 0
		.amdhsa_exception_fp_ieee_invalid_op 0
		.amdhsa_exception_fp_denorm_src 0
		.amdhsa_exception_fp_ieee_div_zero 0
		.amdhsa_exception_fp_ieee_overflow 0
		.amdhsa_exception_fp_ieee_underflow 0
		.amdhsa_exception_fp_ieee_inexact 0
		.amdhsa_exception_int_div_zero 0
	.end_amdhsa_kernel
	.text
.Lfunc_end0:
	.size	fft_rtc_back_len4050_factors_10_5_3_3_3_3_wgs_135_tpt_135_halfLds_sp_ip_CI_unitstride_sbrr_dirReg, .Lfunc_end0-fft_rtc_back_len4050_factors_10_5_3_3_3_3_wgs_135_tpt_135_halfLds_sp_ip_CI_unitstride_sbrr_dirReg
                                        ; -- End function
	.section	.AMDGPU.csdata,"",@progbits
; Kernel info:
; codeLenInByte = 20112
; NumSgprs: 34
; NumVgprs: 148
; ScratchSize: 0
; MemoryBound: 0
; FloatMode: 240
; IeeeMode: 1
; LDSByteSize: 0 bytes/workgroup (compile time only)
; SGPRBlocks: 4
; VGPRBlocks: 18
; NumSGPRsForWavesPerEU: 34
; NumVGPRsForWavesPerEU: 148
; Occupancy: 9
; WaveLimiterHint : 1
; COMPUTE_PGM_RSRC2:SCRATCH_EN: 0
; COMPUTE_PGM_RSRC2:USER_SGPR: 2
; COMPUTE_PGM_RSRC2:TRAP_HANDLER: 0
; COMPUTE_PGM_RSRC2:TGID_X_EN: 1
; COMPUTE_PGM_RSRC2:TGID_Y_EN: 0
; COMPUTE_PGM_RSRC2:TGID_Z_EN: 0
; COMPUTE_PGM_RSRC2:TIDIG_COMP_CNT: 0
	.text
	.p2alignl 7, 3214868480
	.fill 96, 4, 3214868480
	.type	__hip_cuid_b26d00c286e13bf6,@object ; @__hip_cuid_b26d00c286e13bf6
	.section	.bss,"aw",@nobits
	.globl	__hip_cuid_b26d00c286e13bf6
__hip_cuid_b26d00c286e13bf6:
	.byte	0                               ; 0x0
	.size	__hip_cuid_b26d00c286e13bf6, 1

	.ident	"AMD clang version 19.0.0git (https://github.com/RadeonOpenCompute/llvm-project roc-6.4.0 25133 c7fe45cf4b819c5991fe208aaa96edf142730f1d)"
	.section	".note.GNU-stack","",@progbits
	.addrsig
	.addrsig_sym __hip_cuid_b26d00c286e13bf6
	.amdgpu_metadata
---
amdhsa.kernels:
  - .args:
      - .actual_access:  read_only
        .address_space:  global
        .offset:         0
        .size:           8
        .value_kind:     global_buffer
      - .offset:         8
        .size:           8
        .value_kind:     by_value
      - .actual_access:  read_only
        .address_space:  global
        .offset:         16
        .size:           8
        .value_kind:     global_buffer
      - .actual_access:  read_only
        .address_space:  global
        .offset:         24
        .size:           8
        .value_kind:     global_buffer
      - .offset:         32
        .size:           8
        .value_kind:     by_value
      - .actual_access:  read_only
        .address_space:  global
        .offset:         40
        .size:           8
        .value_kind:     global_buffer
      - .actual_access:  read_only
        .address_space:  global
        .offset:         48
        .size:           8
        .value_kind:     global_buffer
      - .offset:         56
        .size:           4
        .value_kind:     by_value
      - .actual_access:  read_only
        .address_space:  global
        .offset:         64
        .size:           8
        .value_kind:     global_buffer
      - .actual_access:  read_only
        .address_space:  global
        .offset:         72
        .size:           8
        .value_kind:     global_buffer
      - .address_space:  global
        .offset:         80
        .size:           8
        .value_kind:     global_buffer
    .group_segment_fixed_size: 0
    .kernarg_segment_align: 8
    .kernarg_segment_size: 88
    .language:       OpenCL C
    .language_version:
      - 2
      - 0
    .max_flat_workgroup_size: 135
    .name:           fft_rtc_back_len4050_factors_10_5_3_3_3_3_wgs_135_tpt_135_halfLds_sp_ip_CI_unitstride_sbrr_dirReg
    .private_segment_fixed_size: 0
    .sgpr_count:     34
    .sgpr_spill_count: 0
    .symbol:         fft_rtc_back_len4050_factors_10_5_3_3_3_3_wgs_135_tpt_135_halfLds_sp_ip_CI_unitstride_sbrr_dirReg.kd
    .uniform_work_group_size: 1
    .uses_dynamic_stack: false
    .vgpr_count:     148
    .vgpr_spill_count: 0
    .wavefront_size: 32
    .workgroup_processor_mode: 1
amdhsa.target:   amdgcn-amd-amdhsa--gfx1201
amdhsa.version:
  - 1
  - 2
...

	.end_amdgpu_metadata
